;; amdgpu-corpus repo=ROCm/rocFFT kind=compiled arch=gfx906 opt=O3
	.text
	.amdgcn_target "amdgcn-amd-amdhsa--gfx906"
	.amdhsa_code_object_version 6
	.protected	fft_rtc_fwd_len182_factors_13_2_7_wgs_52_tpt_13_half_op_CI_CI_unitstride_sbrr_C2R_dirReg ; -- Begin function fft_rtc_fwd_len182_factors_13_2_7_wgs_52_tpt_13_half_op_CI_CI_unitstride_sbrr_C2R_dirReg
	.globl	fft_rtc_fwd_len182_factors_13_2_7_wgs_52_tpt_13_half_op_CI_CI_unitstride_sbrr_C2R_dirReg
	.p2align	8
	.type	fft_rtc_fwd_len182_factors_13_2_7_wgs_52_tpt_13_half_op_CI_CI_unitstride_sbrr_C2R_dirReg,@function
fft_rtc_fwd_len182_factors_13_2_7_wgs_52_tpt_13_half_op_CI_CI_unitstride_sbrr_C2R_dirReg: ; @fft_rtc_fwd_len182_factors_13_2_7_wgs_52_tpt_13_half_op_CI_CI_unitstride_sbrr_C2R_dirReg
; %bb.0:
	s_load_dwordx4 s[8:11], s[4:5], 0x58
	s_load_dwordx4 s[12:15], s[4:5], 0x0
	;; [unrolled: 1-line block ×3, first 2 shown]
	v_mul_u32_u24_e32 v1, 0x13b2, v0
	v_lshrrev_b32_e32 v5, 16, v1
	v_mov_b32_e32 v8, 0
	s_waitcnt lgkmcnt(0)
	v_cmp_lt_u64_e64 s[0:1], s[14:15], 2
	v_mov_b32_e32 v6, 0
	v_lshl_add_u32 v10, s6, 2, v5
	v_mov_b32_e32 v11, v8
	s_and_b64 vcc, exec, s[0:1]
	v_mov_b32_e32 v7, 0
	s_cbranch_vccnz .LBB0_8
; %bb.1:
	s_load_dwordx2 s[0:1], s[4:5], 0x10
	s_add_u32 s2, s18, 8
	s_addc_u32 s3, s19, 0
	s_add_u32 s6, s16, 8
	s_addc_u32 s7, s17, 0
	v_mov_b32_e32 v6, 0
	s_waitcnt lgkmcnt(0)
	s_add_u32 s20, s0, 8
	v_mov_b32_e32 v7, 0
	v_mov_b32_e32 v1, v6
	s_addc_u32 s21, s1, 0
	s_mov_b64 s[22:23], 1
	v_mov_b32_e32 v2, v7
.LBB0_2:                                ; =>This Inner Loop Header: Depth=1
	s_load_dwordx2 s[24:25], s[20:21], 0x0
                                        ; implicit-def: $vgpr3_vgpr4
	s_waitcnt lgkmcnt(0)
	v_or_b32_e32 v9, s25, v11
	v_cmp_ne_u64_e32 vcc, 0, v[8:9]
	s_and_saveexec_b64 s[0:1], vcc
	s_xor_b64 s[26:27], exec, s[0:1]
	s_cbranch_execz .LBB0_4
; %bb.3:                                ;   in Loop: Header=BB0_2 Depth=1
	v_cvt_f32_u32_e32 v3, s24
	v_cvt_f32_u32_e32 v4, s25
	s_sub_u32 s0, 0, s24
	s_subb_u32 s1, 0, s25
	v_mac_f32_e32 v3, 0x4f800000, v4
	v_rcp_f32_e32 v3, v3
	v_mul_f32_e32 v3, 0x5f7ffffc, v3
	v_mul_f32_e32 v4, 0x2f800000, v3
	v_trunc_f32_e32 v4, v4
	v_mac_f32_e32 v3, 0xcf800000, v4
	v_cvt_u32_f32_e32 v4, v4
	v_cvt_u32_f32_e32 v3, v3
	v_mul_lo_u32 v9, s0, v4
	v_mul_hi_u32 v12, s0, v3
	v_mul_lo_u32 v14, s1, v3
	v_mul_lo_u32 v13, s0, v3
	v_add_u32_e32 v9, v12, v9
	v_add_u32_e32 v9, v9, v14
	v_mul_hi_u32 v12, v3, v13
	v_mul_lo_u32 v14, v3, v9
	v_mul_hi_u32 v16, v3, v9
	v_mul_hi_u32 v15, v4, v13
	v_mul_lo_u32 v13, v4, v13
	v_mul_hi_u32 v17, v4, v9
	v_add_co_u32_e32 v12, vcc, v12, v14
	v_addc_co_u32_e32 v14, vcc, 0, v16, vcc
	v_mul_lo_u32 v9, v4, v9
	v_add_co_u32_e32 v12, vcc, v12, v13
	v_addc_co_u32_e32 v12, vcc, v14, v15, vcc
	v_addc_co_u32_e32 v13, vcc, 0, v17, vcc
	v_add_co_u32_e32 v9, vcc, v12, v9
	v_addc_co_u32_e32 v12, vcc, 0, v13, vcc
	v_add_co_u32_e32 v3, vcc, v3, v9
	v_addc_co_u32_e32 v4, vcc, v4, v12, vcc
	v_mul_lo_u32 v9, s0, v4
	v_mul_hi_u32 v12, s0, v3
	v_mul_lo_u32 v13, s1, v3
	v_mul_lo_u32 v14, s0, v3
	v_add_u32_e32 v9, v12, v9
	v_add_u32_e32 v9, v9, v13
	v_mul_lo_u32 v15, v3, v9
	v_mul_hi_u32 v16, v3, v14
	v_mul_hi_u32 v17, v3, v9
	;; [unrolled: 1-line block ×3, first 2 shown]
	v_mul_lo_u32 v14, v4, v14
	v_mul_hi_u32 v12, v4, v9
	v_add_co_u32_e32 v15, vcc, v16, v15
	v_addc_co_u32_e32 v16, vcc, 0, v17, vcc
	v_mul_lo_u32 v9, v4, v9
	v_add_co_u32_e32 v14, vcc, v15, v14
	v_addc_co_u32_e32 v13, vcc, v16, v13, vcc
	v_addc_co_u32_e32 v12, vcc, 0, v12, vcc
	v_add_co_u32_e32 v9, vcc, v13, v9
	v_addc_co_u32_e32 v12, vcc, 0, v12, vcc
	v_add_co_u32_e32 v9, vcc, v3, v9
	v_addc_co_u32_e32 v12, vcc, v4, v12, vcc
	v_mad_u64_u32 v[3:4], s[0:1], v10, v12, 0
	v_mul_hi_u32 v13, v10, v9
	v_add_co_u32_e32 v14, vcc, v13, v3
	v_addc_co_u32_e32 v15, vcc, 0, v4, vcc
	v_mad_u64_u32 v[3:4], s[0:1], v11, v9, 0
	v_mad_u64_u32 v[12:13], s[0:1], v11, v12, 0
	v_add_co_u32_e32 v3, vcc, v14, v3
	v_addc_co_u32_e32 v3, vcc, v15, v4, vcc
	v_addc_co_u32_e32 v4, vcc, 0, v13, vcc
	v_add_co_u32_e32 v9, vcc, v3, v12
	v_addc_co_u32_e32 v12, vcc, 0, v4, vcc
	v_mul_lo_u32 v13, s25, v9
	v_mul_lo_u32 v14, s24, v12
	v_mad_u64_u32 v[3:4], s[0:1], s24, v9, 0
	v_add3_u32 v4, v4, v14, v13
	v_sub_u32_e32 v13, v11, v4
	v_mov_b32_e32 v14, s25
	v_sub_co_u32_e32 v3, vcc, v10, v3
	v_subb_co_u32_e64 v13, s[0:1], v13, v14, vcc
	v_subrev_co_u32_e64 v14, s[0:1], s24, v3
	v_subbrev_co_u32_e64 v13, s[0:1], 0, v13, s[0:1]
	v_cmp_le_u32_e64 s[0:1], s25, v13
	v_cndmask_b32_e64 v15, 0, -1, s[0:1]
	v_cmp_le_u32_e64 s[0:1], s24, v14
	v_cndmask_b32_e64 v14, 0, -1, s[0:1]
	v_cmp_eq_u32_e64 s[0:1], s25, v13
	v_cndmask_b32_e64 v13, v15, v14, s[0:1]
	v_add_co_u32_e64 v14, s[0:1], 2, v9
	v_addc_co_u32_e64 v15, s[0:1], 0, v12, s[0:1]
	v_add_co_u32_e64 v16, s[0:1], 1, v9
	v_addc_co_u32_e64 v17, s[0:1], 0, v12, s[0:1]
	v_subb_co_u32_e32 v4, vcc, v11, v4, vcc
	v_cmp_ne_u32_e64 s[0:1], 0, v13
	v_cmp_le_u32_e32 vcc, s25, v4
	v_cndmask_b32_e64 v13, v17, v15, s[0:1]
	v_cndmask_b32_e64 v15, 0, -1, vcc
	v_cmp_le_u32_e32 vcc, s24, v3
	v_cndmask_b32_e64 v3, 0, -1, vcc
	v_cmp_eq_u32_e32 vcc, s25, v4
	v_cndmask_b32_e32 v3, v15, v3, vcc
	v_cmp_ne_u32_e32 vcc, 0, v3
	v_cndmask_b32_e64 v3, v16, v14, s[0:1]
	v_cndmask_b32_e32 v4, v12, v13, vcc
	v_cndmask_b32_e32 v3, v9, v3, vcc
.LBB0_4:                                ;   in Loop: Header=BB0_2 Depth=1
	s_andn2_saveexec_b64 s[0:1], s[26:27]
	s_cbranch_execz .LBB0_6
; %bb.5:                                ;   in Loop: Header=BB0_2 Depth=1
	v_cvt_f32_u32_e32 v3, s24
	s_sub_i32 s26, 0, s24
	v_rcp_iflag_f32_e32 v3, v3
	v_mul_f32_e32 v3, 0x4f7ffffe, v3
	v_cvt_u32_f32_e32 v3, v3
	v_mul_lo_u32 v4, s26, v3
	v_mul_hi_u32 v4, v3, v4
	v_add_u32_e32 v3, v3, v4
	v_mul_hi_u32 v3, v10, v3
	v_mul_lo_u32 v4, v3, s24
	v_add_u32_e32 v9, 1, v3
	v_sub_u32_e32 v4, v10, v4
	v_subrev_u32_e32 v12, s24, v4
	v_cmp_le_u32_e32 vcc, s24, v4
	v_cndmask_b32_e32 v4, v4, v12, vcc
	v_cndmask_b32_e32 v3, v3, v9, vcc
	v_add_u32_e32 v9, 1, v3
	v_cmp_le_u32_e32 vcc, s24, v4
	v_cndmask_b32_e32 v3, v3, v9, vcc
	v_mov_b32_e32 v4, v8
.LBB0_6:                                ;   in Loop: Header=BB0_2 Depth=1
	s_or_b64 exec, exec, s[0:1]
	v_mul_lo_u32 v9, v4, s24
	v_mul_lo_u32 v14, v3, s25
	v_mad_u64_u32 v[12:13], s[0:1], v3, s24, 0
	s_load_dwordx2 s[0:1], s[6:7], 0x0
	s_load_dwordx2 s[24:25], s[2:3], 0x0
	v_add3_u32 v9, v13, v14, v9
	v_sub_co_u32_e32 v10, vcc, v10, v12
	v_subb_co_u32_e32 v9, vcc, v11, v9, vcc
	s_waitcnt lgkmcnt(0)
	v_mul_lo_u32 v11, s0, v9
	v_mul_lo_u32 v12, s1, v10
	v_mad_u64_u32 v[6:7], s[0:1], s0, v10, v[6:7]
	v_mul_lo_u32 v9, s24, v9
	v_mul_lo_u32 v13, s25, v10
	v_mad_u64_u32 v[1:2], s[0:1], s24, v10, v[1:2]
	s_add_u32 s22, s22, 1
	s_addc_u32 s23, s23, 0
	s_add_u32 s2, s2, 8
	v_add3_u32 v2, v13, v2, v9
	s_addc_u32 s3, s3, 0
	v_mov_b32_e32 v9, s14
	s_add_u32 s6, s6, 8
	v_mov_b32_e32 v10, s15
	s_addc_u32 s7, s7, 0
	v_cmp_ge_u64_e32 vcc, s[22:23], v[9:10]
	s_add_u32 s20, s20, 8
	v_add3_u32 v7, v12, v7, v11
	s_addc_u32 s21, s21, 0
	s_cbranch_vccnz .LBB0_9
; %bb.7:                                ;   in Loop: Header=BB0_2 Depth=1
	v_mov_b32_e32 v11, v4
	v_mov_b32_e32 v10, v3
	s_branch .LBB0_2
.LBB0_8:
	v_mov_b32_e32 v1, v6
	v_mov_b32_e32 v3, v10
	;; [unrolled: 1-line block ×4, first 2 shown]
.LBB0_9:
	s_load_dwordx2 s[0:1], s[4:5], 0x28
	s_lshl_b64 s[6:7], s[14:15], 3
	s_add_u32 s4, s18, s6
	s_addc_u32 s5, s19, s7
	v_and_b32_e32 v10, 3, v5
	s_waitcnt lgkmcnt(0)
	v_cmp_gt_u64_e32 vcc, s[0:1], v[3:4]
	v_cmp_le_u64_e64 s[0:1], s[0:1], v[3:4]
                                        ; implicit-def: $vgpr5
                                        ; implicit-def: $vgpr8_vgpr9
	s_and_saveexec_b64 s[2:3], s[0:1]
	s_xor_b64 s[0:1], exec, s[2:3]
; %bb.10:
	s_mov_b32 s2, 0x13b13b14
	v_mul_hi_u32 v5, v0, s2
	v_mov_b32_e32 v6, 0
	v_mul_u32_u24_e32 v5, 13, v5
	v_sub_u32_e32 v5, v0, v5
	v_mov_b32_e32 v9, v6
	v_mov_b32_e32 v8, v5
                                        ; implicit-def: $vgpr0
                                        ; implicit-def: $vgpr6_vgpr7
; %bb.11:
	s_or_saveexec_b64 s[2:3], s[0:1]
	s_load_dwordx2 s[4:5], s[4:5], 0x0
	v_mul_u32_u24_e32 v12, 0xb7, v10
	v_lshlrev_b32_e32 v34, 2, v12
	s_xor_b64 exec, exec, s[2:3]
	s_cbranch_execz .LBB0_15
; %bb.12:
	s_add_u32 s0, s16, s6
	s_addc_u32 s1, s17, s7
	s_load_dwordx2 s[0:1], s[0:1], 0x0
	s_mov_b32 s6, 0x13b13b14
	v_mul_hi_u32 v5, v0, s6
	v_lshlrev_b64 v[6:7], 2, v[6:7]
	s_waitcnt lgkmcnt(0)
	v_mul_lo_u32 v10, s1, v3
	v_mul_lo_u32 v11, s0, v4
	v_mad_u64_u32 v[8:9], s[0:1], s0, v3, 0
	v_mul_u32_u24_e32 v5, 13, v5
	v_sub_u32_e32 v5, v0, v5
	v_add3_u32 v9, v9, v11, v10
	v_lshlrev_b64 v[8:9], 2, v[8:9]
	v_mov_b32_e32 v0, s9
	v_add_co_u32_e64 v8, s[0:1], s8, v8
	v_addc_co_u32_e64 v0, s[0:1], v0, v9, s[0:1]
	v_add_co_u32_e64 v10, s[0:1], v8, v6
	v_addc_co_u32_e64 v11, s[0:1], v0, v7, s[0:1]
	v_lshlrev_b32_e32 v0, 2, v5
	v_add_co_u32_e64 v6, s[0:1], v10, v0
	v_addc_co_u32_e64 v7, s[0:1], 0, v11, s[0:1]
	global_load_dword v8, v[6:7], off
	global_load_dword v9, v[6:7], off offset:52
	global_load_dword v13, v[6:7], off offset:104
	;; [unrolled: 1-line block ×13, first 2 shown]
	v_mov_b32_e32 v6, 0
	v_add3_u32 v0, 0, v34, v0
	v_cmp_eq_u32_e64 s[0:1], 12, v5
	s_waitcnt vmcnt(12)
	ds_write2_b32 v0, v8, v9 offset1:13
	s_waitcnt vmcnt(10)
	ds_write2_b32 v0, v13, v14 offset0:26 offset1:39
	s_waitcnt vmcnt(8)
	ds_write2_b32 v0, v15, v16 offset0:52 offset1:65
	;; [unrolled: 2-line block ×6, first 2 shown]
	v_mov_b32_e32 v9, v6
	v_mov_b32_e32 v8, v5
	s_and_saveexec_b64 s[6:7], s[0:1]
	s_cbranch_execz .LBB0_14
; %bb.13:
	global_load_dword v5, v[10:11], off offset:728
	v_mov_b32_e32 v8, 12
	v_mov_b32_e32 v9, 0
	s_waitcnt vmcnt(0)
	ds_write_b32 v0, v5 offset:680
	v_mov_b32_e32 v5, 12
.LBB0_14:
	s_or_b64 exec, exec, s[6:7]
.LBB0_15:
	s_or_b64 exec, exec, s[2:3]
	v_lshl_add_u32 v0, v12, 2, 0
	v_lshlrev_b32_e32 v6, 2, v5
	v_add_u32_e32 v33, v0, v6
	s_waitcnt lgkmcnt(0)
	; wave barrier
	s_waitcnt lgkmcnt(0)
	v_sub_u32_e32 v10, v0, v6
	ds_read_u16 v6, v33
	ds_read_u16 v12, v10 offset:728
	v_lshlrev_b64 v[7:8], 2, v[8:9]
	v_cmp_eq_u32_e64 s[0:1], 0, v5
	v_cmp_ne_u32_e64 s[2:3], 0, v5
	s_waitcnt lgkmcnt(0)
	v_add_f16_e32 v11, v12, v6
	v_sub_f16_e32 v9, v6, v12
	s_and_saveexec_b64 s[6:7], s[2:3]
	s_xor_b64 s[6:7], exec, s[6:7]
	s_cbranch_execz .LBB0_17
; %bb.16:
	v_mov_b32_e32 v9, s13
	v_add_co_u32_e64 v13, s[2:3], s12, v7
	v_addc_co_u32_e64 v14, s[2:3], v9, v8, s[2:3]
	global_load_dword v13, v[13:14], off offset:676
	ds_read_u16 v9, v10 offset:730
	ds_read_u16 v11, v33 offset:2
	v_add_f16_e32 v14, v12, v6
	v_sub_f16_e32 v6, v6, v12
	s_waitcnt lgkmcnt(0)
	v_add_f16_e32 v12, v9, v11
	v_sub_f16_e32 v9, v11, v9
	s_waitcnt vmcnt(0)
	v_lshrrev_b32_e32 v11, 16, v13
	v_fma_f16 v15, v6, v11, v14
	v_fma_f16 v16, v12, v11, v9
	v_fma_f16 v14, -v6, v11, v14
	v_fma_f16 v17, v12, v11, -v9
	v_fma_f16 v11, -v13, v12, v15
	v_fma_f16 v9, v6, v13, v16
	v_fma_f16 v12, v13, v12, v14
	;; [unrolled: 1-line block ×3, first 2 shown]
	v_pack_b32_f16 v6, v12, v6
	ds_write_b32 v10, v6 offset:728
.LBB0_17:
	s_andn2_saveexec_b64 s[2:3], s[6:7]
	s_cbranch_execz .LBB0_19
; %bb.18:
	ds_read_b32 v6, v0 offset:364
	s_mov_b32 s6, 0xc0004000
	s_waitcnt lgkmcnt(0)
	v_pk_mul_f16 v6, v6, s6
	ds_write_b32 v0, v6 offset:364
.LBB0_19:
	s_or_b64 exec, exec, s[2:3]
	v_mov_b32_e32 v6, 0
	s_add_u32 s2, s12, 0x2a4
	v_lshlrev_b64 v[12:13], 2, v[5:6]
	s_addc_u32 s3, s13, 0
	v_mov_b32_e32 v6, s3
	v_add_co_u32_e64 v12, s[2:3], s2, v12
	v_addc_co_u32_e64 v13, s[2:3], v6, v13, s[2:3]
	global_load_dword v6, v[12:13], off offset:52
	global_load_dword v14, v[12:13], off offset:104
	;; [unrolled: 1-line block ×4, first 2 shown]
	s_mov_b32 s2, 0x5040100
	v_perm_b32 v9, v9, v11, s2
	ds_write_b32 v33, v9
	ds_read_b32 v9, v33 offset:52
	ds_read_b32 v11, v10 offset:676
	global_load_dword v17, v[12:13], off offset:260
	global_load_dword v18, v[12:13], off offset:312
	s_mov_b32 s18, 0xb770
	s_movk_i32 s7, 0x3b15
	s_mov_b32 s24, 0x3b15388b
	s_waitcnt lgkmcnt(0)
	v_add_f16_e32 v12, v9, v11
	v_add_f16_sdwa v13, v11, v9 dst_sel:DWORD dst_unused:UNUSED_PAD src0_sel:WORD_1 src1_sel:WORD_1
	v_sub_f16_e32 v19, v9, v11
	v_sub_f16_sdwa v9, v9, v11 dst_sel:DWORD dst_unused:UNUSED_PAD src0_sel:WORD_1 src1_sel:WORD_1
	s_mov_b32 s25, 0xba95b770
	s_mov_b32 s6, 0xffff
	s_movk_i32 s8, 0x388b
	s_mov_b32 s23, 0xbbf1
	s_movk_i32 s14, 0x2fb7
	s_mov_b32 s9, 0xbb7b
	s_mov_b32 s15, 0xb5ac
	;; [unrolled: 1-line block ×9, first 2 shown]
	s_movk_i32 s31, 0x394e
	s_movk_i32 s20, 0x3bf1
	s_mov_b32 s29, 0x2fb7bbc4
	s_mov_b32 s30, 0xb3a8bbf1
	s_movk_i32 s33, 0x3b7b
	s_movk_i32 s26, 0x3770
	s_mov_b32 s34, 0xb5acb9fd
	s_mov_b32 s35, 0x394ebb7b
	s_movk_i32 s40, 0x33a8
	s_mov_b32 s37, 0xb9fd2fb7
	s_mov_b32 s38, 0x3bf1b94e
	;; [unrolled: 1-line block ×4, first 2 shown]
	s_movk_i32 s36, 0x3a95
	v_mul_u32_u24_e32 v36, 52, v5
	v_add3_u32 v36, 0, v36, v34
	s_waitcnt vmcnt(5)
	v_lshrrev_b32_e32 v11, 16, v6
	v_fma_f16 v20, v19, v11, v12
	v_fma_f16 v21, v13, v11, v9
	v_fma_f16 v12, -v19, v11, v12
	v_fma_f16 v9, v13, v11, -v9
	v_fma_f16 v11, -v6, v13, v20
	v_fma_f16 v20, v19, v6, v21
	v_fma_f16 v12, v6, v13, v12
	v_fma_f16 v6, v19, v6, v9
	v_pack_b32_f16 v9, v11, v20
	v_pack_b32_f16 v6, v12, v6
	ds_write_b32 v33, v9 offset:52
	ds_write_b32 v10, v6 offset:676
	ds_read_b32 v6, v33 offset:104
	ds_read_b32 v9, v10 offset:624
	s_waitcnt vmcnt(4)
	v_lshrrev_b32_e32 v11, 16, v14
	s_waitcnt lgkmcnt(0)
	v_add_f16_e32 v12, v6, v9
	v_add_f16_sdwa v13, v9, v6 dst_sel:DWORD dst_unused:UNUSED_PAD src0_sel:WORD_1 src1_sel:WORD_1
	v_sub_f16_e32 v19, v6, v9
	v_sub_f16_sdwa v6, v6, v9 dst_sel:DWORD dst_unused:UNUSED_PAD src0_sel:WORD_1 src1_sel:WORD_1
	v_fma_f16 v9, v19, v11, v12
	v_fma_f16 v20, v13, v11, v6
	v_fma_f16 v12, -v19, v11, v12
	v_fma_f16 v6, v13, v11, -v6
	v_fma_f16 v9, -v14, v13, v9
	v_fma_f16 v11, v19, v14, v20
	v_fma_f16 v12, v14, v13, v12
	v_fma_f16 v6, v19, v14, v6
	v_pack_b32_f16 v9, v9, v11
	v_pack_b32_f16 v6, v12, v6
	ds_write_b32 v33, v9 offset:104
	ds_write_b32 v10, v6 offset:624
	ds_read_b32 v6, v33 offset:156
	ds_read_b32 v9, v10 offset:572
	s_waitcnt vmcnt(3)
	v_lshrrev_b32_e32 v11, 16, v15
	s_waitcnt lgkmcnt(0)
	v_add_f16_e32 v12, v6, v9
	v_add_f16_sdwa v13, v9, v6 dst_sel:DWORD dst_unused:UNUSED_PAD src0_sel:WORD_1 src1_sel:WORD_1
	v_sub_f16_e32 v14, v6, v9
	v_sub_f16_sdwa v6, v6, v9 dst_sel:DWORD dst_unused:UNUSED_PAD src0_sel:WORD_1 src1_sel:WORD_1
	;; [unrolled: 21-line block ×4, first 2 shown]
	v_fma_f16 v9, v14, v11, v12
	v_fma_f16 v15, v13, v11, v6
	v_fma_f16 v12, -v14, v11, v12
	v_fma_f16 v6, v13, v11, -v6
	v_fma_f16 v9, -v17, v13, v9
	v_fma_f16 v11, v14, v17, v15
	v_fma_f16 v12, v17, v13, v12
	;; [unrolled: 1-line block ×3, first 2 shown]
	v_pack_b32_f16 v9, v9, v11
	v_pack_b32_f16 v6, v12, v6
	ds_write_b32 v33, v9 offset:260
	ds_write_b32 v10, v6 offset:468
	ds_read_b32 v9, v33 offset:312
	ds_read_b32 v11, v10 offset:416
	s_waitcnt vmcnt(0)
	v_lshrrev_b32_e32 v12, 16, v18
	v_lshl_add_u32 v6, v5, 2, 0
	v_add_u32_e32 v6, v6, v34
	s_waitcnt lgkmcnt(0)
	v_add_f16_e32 v13, v9, v11
	v_add_f16_sdwa v14, v11, v9 dst_sel:DWORD dst_unused:UNUSED_PAD src0_sel:WORD_1 src1_sel:WORD_1
	v_sub_f16_e32 v15, v9, v11
	v_sub_f16_sdwa v9, v9, v11 dst_sel:DWORD dst_unused:UNUSED_PAD src0_sel:WORD_1 src1_sel:WORD_1
	v_fma_f16 v11, v15, v12, v13
	v_fma_f16 v16, v14, v12, v9
	v_fma_f16 v13, -v15, v12, v13
	v_fma_f16 v9, v14, v12, -v9
	v_fma_f16 v11, -v18, v14, v11
	v_fma_f16 v12, v15, v18, v16
	v_fma_f16 v13, v18, v14, v13
	v_fma_f16 v9, v15, v18, v9
	v_pack_b32_f16 v11, v11, v12
	v_pack_b32_f16 v9, v13, v9
	ds_write_b32 v33, v11 offset:312
	ds_write_b32 v10, v9 offset:416
	s_waitcnt lgkmcnt(0)
	; wave barrier
	s_waitcnt lgkmcnt(0)
	s_waitcnt lgkmcnt(0)
	; wave barrier
	s_waitcnt lgkmcnt(0)
	ds_read2_b32 v[25:26], v6 offset0:27 offset1:28
	ds_read2_b32 v[21:22], v6 offset0:41 offset1:42
	;; [unrolled: 1-line block ×11, first 2 shown]
	ds_read_b32 v37, v33
	ds_read2_b32 v[31:32], v6 offset0:167 offset1:168
	ds_read_b32 v35, v6 offset:724
	s_waitcnt lgkmcnt(0)
	; wave barrier
	s_waitcnt lgkmcnt(0)
	v_pk_add_f16 v38, v37, v10
	v_pk_add_f16 v38, v38, v26
	;; [unrolled: 1-line block ×12, first 2 shown]
	v_pk_add_f16 v10, v10, v32 neg_lo:[0,1] neg_hi:[0,1]
	v_pk_add_f16 v38, v38, v32
	v_mul_f16_sdwa v32, v10, s18 dst_sel:DWORD dst_unused:UNUSED_PAD src0_sel:WORD_1 src1_sel:DWORD
	v_fma_f16 v40, v39, s7, -v32
	v_fma_f16 v32, v39, s7, v32
	v_add_f16_e32 v41, v37, v32
	v_pk_mul_f16 v32, v39, s24
	v_pk_fma_f16 v42, v10, s25, v32 op_sel:[0,0,1] op_sel_hi:[1,1,0] neg_lo:[1,0,0] neg_hi:[1,0,0]
	v_pk_fma_f16 v32, v10, s25, v32 op_sel:[0,0,1] op_sel_hi:[1,1,0]
	v_lshrrev_b32_e32 v44, 16, v39
	v_mul_f16_e32 v45, 0xba95, v10
	v_bfi_b32 v43, s6, v32, v42
	v_pk_add_f16 v47, v37, v32 op_sel:[1,0] op_sel_hi:[0,1]
	v_fma_f16 v32, v44, s8, -v45
	v_fma_f16 v46, v44, s8, v45
	v_add_f16_sdwa v45, v37, v32 dst_sel:DWORD dst_unused:UNUSED_PAD src0_sel:WORD_1 src1_sel:DWORD
	v_mul_f16_sdwa v32, v10, s23 dst_sel:DWORD dst_unused:UNUSED_PAD src0_sel:WORD_1 src1_sel:DWORD
	v_fma_f16 v48, v39, s14, -v32
	v_mul_f16_e32 v49, 0xbbf1, v10
	v_fma_f16 v32, v39, s14, v32
	v_add_f16_e32 v51, v37, v32
	v_fma_f16 v32, v44, s14, -v49
	v_fma_f16 v50, v44, s14, v49
	v_add_f16_sdwa v49, v37, v32 dst_sel:DWORD dst_unused:UNUSED_PAD src0_sel:WORD_1 src1_sel:DWORD
	v_mul_f16_sdwa v32, v10, s9 dst_sel:DWORD dst_unused:UNUSED_PAD src0_sel:WORD_1 src1_sel:DWORD
	v_fma_f16 v52, v39, s15, -v32
	v_mul_f16_e32 v53, 0xbb7b, v10
	v_fma_f16 v32, v39, s15, v32
	v_add_f16_e32 v55, v37, v32
	;; [unrolled: 8-line block ×3, first 2 shown]
	v_fma_f16 v32, v44, s17, -v57
	v_fma_f16 v58, v44, s17, v57
	v_add_f16_sdwa v44, v37, v32 dst_sel:DWORD dst_unused:UNUSED_PAD src0_sel:WORD_1 src1_sel:DWORD
	v_pk_add_f16 v32, v30, v26
	v_pk_add_f16 v26, v26, v30 neg_lo:[0,1] neg_hi:[0,1]
	v_mul_f16_sdwa v30, v26, s22 dst_sel:DWORD dst_unused:UNUSED_PAD src0_sel:WORD_1 src1_sel:DWORD
	v_fma_f16 v57, v32, s8, -v30
	v_fma_f16 v30, v32, s8, v30
	v_add_f16_e32 v40, v37, v40
	v_add_f16_e32 v41, v30, v41
	v_pk_mul_f16 v30, v32, s27
	v_add_f16_e32 v40, v57, v40
	v_pk_fma_f16 v57, v26, s28, v30 op_sel:[0,0,1] op_sel_hi:[1,1,0] neg_lo:[1,0,0] neg_hi:[1,0,0]
	v_pk_fma_f16 v30, v26, s28, v30 op_sel:[0,0,1] op_sel_hi:[1,1,0]
	v_pk_add_f16 v43, v37, v43 op_sel:[1,0] op_sel_hi:[0,1]
	v_bfi_b32 v60, s6, v30, v57
	v_pk_add_f16 v43, v60, v43
	v_lshrrev_b32_e32 v60, 16, v32
	v_mul_f16_e32 v61, 0xbb7b, v26
	v_pk_add_f16 v47, v30, v47
	v_fma_f16 v30, v60, s15, -v61
	v_add_f16_e32 v45, v30, v45
	v_mul_f16_sdwa v30, v26, s19 dst_sel:DWORD dst_unused:UNUSED_PAD src0_sel:WORD_1 src1_sel:DWORD
	v_add_f16_e32 v48, v37, v48
	v_fma_f16 v62, v60, s15, v61
	v_fma_f16 v61, v32, s21, -v30
	v_add_f16_e32 v48, v61, v48
	v_mul_f16_e32 v61, 0xb3a8, v26
	v_fma_f16 v30, v32, s21, v30
	v_add_f16_e32 v51, v30, v51
	v_fma_f16 v30, v60, s21, -v61
	v_add_f16_sdwa v46, v37, v46 dst_sel:DWORD dst_unused:UNUSED_PAD src0_sel:WORD_1 src1_sel:DWORD
	v_add_f16_e32 v49, v30, v49
	v_mul_f16_sdwa v30, v26, s31 dst_sel:DWORD dst_unused:UNUSED_PAD src0_sel:WORD_1 src1_sel:DWORD
	v_add_f16_e32 v52, v37, v52
	v_add_f16_e32 v46, v62, v46
	v_fma_f16 v62, v60, s21, v61
	v_fma_f16 v61, v32, s17, -v30
	v_add_f16_e32 v52, v61, v52
	v_mul_f16_e32 v61, 0x394e, v26
	v_fma_f16 v30, v32, s17, v30
	v_add_f16_e32 v55, v30, v55
	v_fma_f16 v30, v60, s17, -v61
	v_add_f16_sdwa v50, v37, v50 dst_sel:DWORD dst_unused:UNUSED_PAD src0_sel:WORD_1 src1_sel:DWORD
	v_add_f16_e32 v53, v30, v53
	v_mul_f16_sdwa v30, v26, s20 dst_sel:DWORD dst_unused:UNUSED_PAD src0_sel:WORD_1 src1_sel:DWORD
	v_add_f16_e32 v56, v37, v56
	v_add_f16_e32 v50, v62, v50
	v_fma_f16 v62, v60, s17, v61
	v_fma_f16 v61, v32, s14, -v30
	v_add_f16_e32 v56, v61, v56
	v_mul_f16_e32 v61, 0x3bf1, v26
	v_fma_f16 v30, v32, s14, v30
	v_add_f16_e32 v59, v30, v59
	v_fma_f16 v30, v60, s14, -v61
	v_add_f16_e32 v44, v30, v44
	v_pk_add_f16 v30, v28, v22
	v_pk_add_f16 v22, v22, v28 neg_lo:[0,1] neg_hi:[0,1]
	v_add_f16_sdwa v54, v37, v54 dst_sel:DWORD dst_unused:UNUSED_PAD src0_sel:WORD_1 src1_sel:DWORD
	v_mul_f16_sdwa v28, v22, s23 dst_sel:DWORD dst_unused:UNUSED_PAD src0_sel:WORD_1 src1_sel:DWORD
	v_add_f16_e32 v54, v62, v54
	v_fma_f16 v62, v60, s14, v61
	v_fma_f16 v60, v30, s14, -v28
	v_fma_f16 v28, v30, s14, v28
	v_add_f16_e32 v28, v28, v41
	v_pk_mul_f16 v41, v30, s29
	v_add_f16_e32 v40, v60, v40
	v_pk_fma_f16 v60, v22, s30, v41 op_sel:[0,0,1] op_sel_hi:[1,1,0] neg_lo:[1,0,0] neg_hi:[1,0,0]
	v_pk_fma_f16 v41, v22, s30, v41 op_sel:[0,0,1] op_sel_hi:[1,1,0]
	v_add_f16_sdwa v58, v37, v58 dst_sel:DWORD dst_unused:UNUSED_PAD src0_sel:WORD_1 src1_sel:DWORD
	v_bfi_b32 v61, s6, v41, v60
	v_add_f16_e32 v58, v62, v58
	v_pk_add_f16 v43, v61, v43
	v_lshrrev_b32_e32 v61, 16, v30
	v_mul_f16_e32 v62, 0xb3a8, v22
	v_pk_add_f16 v41, v41, v47
	v_fma_f16 v47, v61, s21, -v62
	v_add_f16_e32 v45, v47, v45
	v_mul_f16_sdwa v47, v22, s33 dst_sel:DWORD dst_unused:UNUSED_PAD src0_sel:WORD_1 src1_sel:DWORD
	v_fma_f16 v63, v61, s21, v62
	v_fma_f16 v62, v30, s15, -v47
	v_add_f16_e32 v48, v62, v48
	v_mul_f16_e32 v62, 0x3b7b, v22
	v_fma_f16 v47, v30, s15, v47
	v_add_f16_e32 v47, v47, v51
	v_fma_f16 v51, v61, s15, -v62
	v_add_f16_e32 v49, v51, v49
	v_mul_f16_sdwa v51, v22, s26 dst_sel:DWORD dst_unused:UNUSED_PAD src0_sel:WORD_1 src1_sel:DWORD
	v_add_f16_e32 v46, v63, v46
	v_fma_f16 v63, v61, s15, v62
	v_fma_f16 v62, v30, s7, -v51
	v_add_f16_e32 v52, v62, v52
	v_mul_f16_e32 v62, 0x3770, v22
	v_fma_f16 v51, v30, s7, v51
	v_add_f16_e32 v51, v51, v55
	v_fma_f16 v55, v61, s7, -v62
	v_add_f16_e32 v53, v55, v53
	v_mul_f16_sdwa v55, v22, s22 dst_sel:DWORD dst_unused:UNUSED_PAD src0_sel:WORD_1 src1_sel:DWORD
	v_add_f16_e32 v50, v63, v50
	v_fma_f16 v63, v61, s7, v62
	v_fma_f16 v62, v30, s8, -v55
	v_add_f16_e32 v56, v62, v56
	v_mul_f16_e32 v62, 0xba95, v22
	v_fma_f16 v55, v30, s8, v55
	v_add_f16_e32 v54, v63, v54
	v_fma_f16 v63, v61, s8, v62
	v_add_f16_e32 v55, v55, v59
	v_fma_f16 v59, v61, s8, -v62
	v_pk_add_f16 v61, v20, v24 neg_lo:[0,1] neg_hi:[0,1]
	v_add_f16_e32 v44, v59, v44
	v_pk_add_f16 v59, v24, v20
	v_mul_f16_sdwa v20, v61, s9 dst_sel:DWORD dst_unused:UNUSED_PAD src0_sel:WORD_1 src1_sel:DWORD
	v_fma_f16 v24, v59, s15, -v20
	v_fma_f16 v20, v59, s15, v20
	v_add_f16_e32 v28, v20, v28
	v_pk_mul_f16 v20, v59, s34
	v_pk_fma_f16 v62, v61, s35, v20 op_sel:[0,0,1] op_sel_hi:[1,1,0] neg_lo:[1,0,0] neg_hi:[1,0,0]
	v_pk_fma_f16 v20, v61, s35, v20 op_sel:[0,0,1] op_sel_hi:[1,1,0]
	v_add_f16_e32 v40, v24, v40
	v_bfi_b32 v24, s6, v20, v62
	v_add_f16_e32 v58, v63, v58
	v_pk_add_f16 v43, v24, v43
	v_lshrrev_b32_e32 v63, 16, v59
	v_mul_f16_e32 v24, 0x394e, v61
	v_fma_f16 v64, v63, s17, v24
	v_fma_f16 v24, v63, s17, -v24
	v_pk_add_f16 v20, v20, v41
	v_add_f16_e32 v41, v24, v45
	v_mul_f16_sdwa v24, v61, s26 dst_sel:DWORD dst_unused:UNUSED_PAD src0_sel:WORD_1 src1_sel:DWORD
	v_fma_f16 v45, v59, s7, -v24
	v_add_f16_e32 v45, v45, v48
	v_mul_f16_e32 v48, 0x3770, v61
	v_fma_f16 v24, v59, s7, v24
	v_add_f16_e32 v46, v64, v46
	v_fma_f16 v64, v63, s7, v48
	v_add_f16_e32 v47, v24, v47
	v_fma_f16 v24, v63, s7, -v48
	v_mul_f16_sdwa v48, v61, s23 dst_sel:DWORD dst_unused:UNUSED_PAD src0_sel:WORD_1 src1_sel:DWORD
	v_add_f16_e32 v24, v24, v49
	v_fma_f16 v49, v59, s14, -v48
	v_add_f16_e32 v49, v49, v52
	v_mul_f16_e32 v52, 0xbbf1, v61
	v_fma_f16 v48, v59, s14, v48
	v_add_f16_e32 v50, v64, v50
	v_fma_f16 v64, v63, s14, v52
	v_add_f16_e32 v48, v48, v51
	v_fma_f16 v51, v63, s14, -v52
	v_mul_f16_sdwa v52, v61, s40 dst_sel:DWORD dst_unused:UNUSED_PAD src0_sel:WORD_1 src1_sel:DWORD
	v_add_f16_e32 v51, v51, v53
	v_fma_f16 v53, v59, s21, -v52
	v_add_f16_e32 v53, v53, v56
	v_mul_f16_e32 v56, 0x33a8, v61
	v_fma_f16 v52, v59, s21, v52
	v_add_f16_e32 v52, v52, v55
	v_fma_f16 v55, v63, s21, -v56
	v_add_f16_e32 v44, v55, v44
	v_pk_add_f16 v55, v16, v18
	v_pk_add_f16 v16, v18, v16 neg_lo:[0,1] neg_hi:[0,1]
	v_mul_f16_sdwa v18, v16, s16 dst_sel:DWORD dst_unused:UNUSED_PAD src0_sel:WORD_1 src1_sel:DWORD
	v_add_f16_e32 v54, v64, v54
	v_fma_f16 v64, v63, s21, v56
	v_fma_f16 v56, v55, s17, -v18
	v_fma_f16 v18, v55, s17, v18
	v_add_f16_e32 v18, v18, v28
	v_pk_mul_f16 v28, v55, s37
	v_add_f16_e32 v40, v56, v40
	v_pk_fma_f16 v56, v16, s38, v28 op_sel:[0,0,1] op_sel_hi:[1,1,0] neg_lo:[1,0,0] neg_hi:[1,0,0]
	v_pk_fma_f16 v28, v16, s38, v28 op_sel:[0,0,1] op_sel_hi:[1,1,0]
	v_bfi_b32 v63, s6, v28, v56
	v_add_f16_e32 v58, v64, v58
	v_pk_add_f16 v43, v63, v43
	v_lshrrev_b32_e32 v63, 16, v55
	v_mul_f16_e32 v64, 0x3bf1, v16
	v_fma_f16 v65, v63, s14, v64
	v_fma_f16 v64, v63, s14, -v64
	v_add_f16_e32 v41, v64, v41
	v_mul_f16_sdwa v64, v16, s22 dst_sel:DWORD dst_unused:UNUSED_PAD src0_sel:WORD_1 src1_sel:DWORD
	v_add_f16_e32 v46, v65, v46
	v_fma_f16 v65, v55, s8, -v64
	v_add_f16_e32 v45, v65, v45
	v_mul_f16_e32 v65, 0xba95, v16
	v_fma_f16 v64, v55, s8, v64
	v_fma_f16 v66, v63, s8, v65
	v_add_f16_e32 v47, v64, v47
	v_fma_f16 v64, v63, s8, -v65
	v_mul_f16_sdwa v65, v16, s40 dst_sel:DWORD dst_unused:UNUSED_PAD src0_sel:WORD_1 src1_sel:DWORD
	v_add_f16_e32 v50, v66, v50
	v_fma_f16 v66, v55, s21, -v65
	v_add_f16_e32 v49, v66, v49
	v_mul_f16_e32 v66, 0x33a8, v16
	v_fma_f16 v65, v55, s21, v65
	v_add_f16_e32 v48, v65, v48
	v_fma_f16 v65, v63, s21, -v66
	v_add_f16_e32 v51, v65, v51
	v_mul_f16_sdwa v65, v16, s26 dst_sel:DWORD dst_unused:UNUSED_PAD src0_sel:WORD_1 src1_sel:DWORD
	v_fma_f16 v67, v63, s21, v66
	v_fma_f16 v66, v55, s7, -v65
	v_add_f16_e32 v53, v66, v53
	v_mul_f16_e32 v66, 0x3770, v16
	v_add_f16_e32 v54, v67, v54
	v_fma_f16 v67, v63, s7, v66
	v_fma_f16 v63, v63, s7, -v66
	v_add_f16_e32 v44, v63, v44
	v_pk_add_f16 v63, v12, v14
	v_pk_add_f16 v12, v14, v12 neg_lo:[0,1] neg_hi:[0,1]
	v_add_f16_sdwa v42, v37, v42 dst_sel:DWORD dst_unused:UNUSED_PAD src0_sel:WORD_1 src1_sel:DWORD
	v_fma_f16 v65, v55, s7, v65
	v_mul_f16_sdwa v14, v12, s19 dst_sel:DWORD dst_unused:UNUSED_PAD src0_sel:WORD_1 src1_sel:DWORD
	v_add_f16_e32 v42, v57, v42
	v_add_f16_e32 v52, v65, v52
	v_fma_f16 v65, v63, s21, -v14
	v_fma_f16 v14, v63, s21, v14
	v_add_f16_e32 v42, v60, v42
	v_add_f16_e32 v14, v14, v18
	v_pk_mul_f16 v18, v63, s41
	v_add_f16_e32 v42, v62, v42
	v_pk_fma_f16 v66, v12, s39, v18 op_sel:[0,0,1] op_sel_hi:[1,1,0] neg_lo:[1,0,0] neg_hi:[1,0,0]
	v_add_f16_e32 v42, v56, v42
	v_pk_fma_f16 v56, v12, s39, v18 op_sel:[0,0,1] op_sel_hi:[1,1,0]
	v_bfi_b32 v56, s6, v56, v66
	v_pk_add_f16 v43, v56, v43
	v_lshrrev_b32_e32 v56, 16, v63
	v_mul_f16_e32 v57, 0x3770, v12
	v_fma_f16 v60, v56, s7, v57
	v_fma_f16 v57, v56, s7, -v57
	v_add_f16_e32 v41, v57, v41
	v_mul_f16_sdwa v57, v12, s16 dst_sel:DWORD dst_unused:UNUSED_PAD src0_sel:WORD_1 src1_sel:DWORD
	v_add_f16_e32 v46, v60, v46
	v_fma_f16 v60, v63, s17, -v57
	v_add_f16_e32 v45, v60, v45
	v_mul_f16_e32 v60, 0xb9fd, v56
	v_fma_f16 v57, v63, s17, v57
	v_add_f16_e32 v42, v66, v42
	v_fma_f16 v66, v12, s16, v60
	v_add_f16_e32 v47, v57, v47
	v_mul_f16_sdwa v57, v12, s36 dst_sel:DWORD dst_unused:UNUSED_PAD src0_sel:WORD_1 src1_sel:DWORD
	v_add_f16_e32 v50, v66, v50
	v_fma_f16 v66, v63, s8, -v57
	v_add_f16_e32 v49, v66, v49
	v_mul_f16_e32 v66, 0x3a95, v12
	v_fma_f16 v57, v63, s8, v57
	v_add_f16_e32 v48, v57, v48
	v_fma_f16 v57, v56, s8, -v66
	v_add_f16_e32 v51, v57, v51
	v_mul_f16_sdwa v57, v12, s9 dst_sel:DWORD dst_unused:UNUSED_PAD src0_sel:WORD_1 src1_sel:DWORD
	v_add_f16_e32 v58, v67, v58
	v_fma_f16 v67, v56, s8, v66
	v_fma_f16 v66, v63, s15, -v57
	v_add_f16_e32 v40, v65, v40
	v_add_f16_e32 v53, v66, v53
	v_mul_f16_e32 v66, 0xbb7b, v12
	v_add_f16_e32 v54, v67, v54
	v_fma_f16 v67, v56, s15, v66
	v_alignbit_b32 v46, v46, v43, 16
	v_pack_b32_f16 v40, v40, v43
	v_add_f16_e32 v58, v67, v58
	ds_write2_b32 v36, v40, v46 offset0:1 offset1:2
	v_pack_b32_f16 v40, v49, v54
	v_pack_b32_f16 v43, v45, v50
	ds_write2_b32 v36, v43, v40 offset0:3 offset1:4
	v_pack_b32_f16 v40, v53, v58
	ds_write2_b32 v36, v38, v40 offset1:5
	v_pk_mul_f16 v38, v39, s21 op_sel_hi:[1,0]
	v_pk_fma_f16 v39, v10, s19, v38 op_sel:[0,0,1] op_sel_hi:[1,0,0] neg_lo:[1,0,0] neg_hi:[1,0,0]
	v_pk_fma_f16 v10, v10, s19, v38 op_sel:[0,0,1] op_sel_hi:[1,0,0]
	v_pk_mul_f16 v32, v32, s7 op_sel_hi:[1,0]
	v_pk_add_f16 v39, v37, v39 op_sel:[1,0] op_sel_hi:[0,1]
	v_pk_add_f16 v10, v37, v10 op_sel:[1,0] op_sel_hi:[0,1]
	v_pk_fma_f16 v37, v26, s26, v32 op_sel:[0,0,1] op_sel_hi:[1,0,0] neg_lo:[1,0,0] neg_hi:[1,0,0]
	v_pk_fma_f16 v26, v26, s26, v32 op_sel:[0,0,1] op_sel_hi:[1,0,0]
	v_pk_add_f16 v10, v26, v10
	v_pk_mul_f16 v26, v30, s17 op_sel_hi:[1,0]
	v_pk_fma_f16 v30, v22, s16, v26 op_sel:[0,0,1] op_sel_hi:[1,0,0] neg_lo:[1,0,0] neg_hi:[1,0,0]
	v_pk_fma_f16 v22, v22, s16, v26 op_sel:[0,0,1] op_sel_hi:[1,0,0]
	v_pk_add_f16 v10, v22, v10
	v_pk_mul_f16 v22, v59, s8 op_sel_hi:[1,0]
	v_pk_add_f16 v37, v37, v39
	v_pk_fma_f16 v26, v61, s36, v22 op_sel:[0,0,1] op_sel_hi:[1,0,0] neg_lo:[1,0,0] neg_hi:[1,0,0]
	v_pk_fma_f16 v22, v61, s36, v22 op_sel:[0,0,1] op_sel_hi:[1,0,0]
	v_pk_add_f16 v30, v30, v37
	v_pk_add_f16 v10, v22, v10
	v_pk_mul_f16 v22, v55, s15 op_sel_hi:[1,0]
	v_pk_add_f16 v26, v26, v30
	v_pk_fma_f16 v30, v16, s9, v22 op_sel:[0,0,1] op_sel_hi:[1,0,0] neg_lo:[1,0,0] neg_hi:[1,0,0]
	v_pk_fma_f16 v16, v16, s9, v22 op_sel:[0,0,1] op_sel_hi:[1,0,0]
	v_pk_add_f16 v10, v16, v10
	v_pk_mul_f16 v16, v63, s14 op_sel_hi:[1,0]
	v_pk_mul_f16 v65, v12, s39
	v_mul_f16_e32 v62, 0xb94e, v12
	v_pk_add_f16 v26, v30, v26
	v_pk_fma_f16 v22, v12, s20, v16 op_sel:[0,0,1] op_sel_hi:[1,0,0] neg_lo:[1,0,0] neg_hi:[1,0,0]
	v_pk_fma_f16 v12, v12, s20, v16 op_sel:[0,0,1] op_sel_hi:[1,0,0]
	v_fma_f16 v57, v63, s15, v57
	v_fma_f16 v56, v56, s15, -v66
	v_pk_add_f16 v22, v22, v26
	v_pk_add_f16 v10, v12, v10
	v_add_f16_e32 v52, v57, v52
	v_add_f16_e32 v44, v56, v44
	v_alignbit_b32 v12, v22, v10, 16
	v_alignbit_b32 v10, v10, v22, 16
	ds_write2_b32 v36, v10, v12 offset0:6 offset1:7
	v_pack_b32_f16 v10, v48, v51
	v_pack_b32_f16 v12, v52, v44
	ds_write2_b32 v36, v12, v10 offset0:8 offset1:9
	v_pack_b32_f16 v10, v64, v18
	v_bfi_b32 v12, s6, v24, v65
	v_pk_add_f16 v10, v10, v12
	v_bfi_b32 v12, s6, v62, v20
	v_pk_add_f16 v12, v60, v12 neg_lo:[0,1] neg_hi:[0,1]
	v_pk_add_f16 v16, v28, v20
	v_bfi_b32 v12, s6, v12, v16
	v_pk_add_f16 v10, v12, v10
	v_alignbit_b32 v12, v41, v10, 16
	v_pack_b32_f16 v10, v47, v10
	ds_write2_b32 v36, v10, v12 offset0:10 offset1:11
	v_pack_b32_f16 v10, v14, v42
	ds_write_b32 v36, v10 offset:48
	s_and_saveexec_b64 s[2:3], s[0:1]
	s_cbranch_execz .LBB0_21
; %bb.20:
	v_pk_add_f16 v10, v9, v25
	v_pk_add_f16 v10, v10, v21
	;; [unrolled: 1-line block ×7, first 2 shown]
	v_pk_add_f16 v12, v25, v35 neg_lo:[0,1] neg_hi:[0,1]
	v_pk_add_f16 v14, v35, v25
	v_pk_add_f16 v10, v10, v23
	v_pk_add_f16 v16, v21, v31 neg_lo:[0,1] neg_hi:[0,1]
	v_pk_add_f16 v18, v31, v21
	v_pk_add_f16 v22, v13, v23 neg_lo:[0,1] neg_hi:[0,1]
	;; [unrolled: 2-line block ×3, first 2 shown]
	v_pk_add_f16 v11, v15, v11
	v_mul_f16_e32 v15, 0xb94e, v12
	v_lshrrev_b32_e32 v24, 16, v14
	v_pk_add_f16 v10, v10, v27
	v_pk_add_f16 v21, v17, v27 neg_lo:[0,1] neg_hi:[0,1]
	v_pk_add_f16 v17, v27, v17
	v_fma_f16 v25, v24, s17, v15
	v_mul_f16_e32 v26, 0x3bf1, v16
	v_lshrrev_b32_e32 v27, 16, v18
	v_pk_add_f16 v20, v19, v29 neg_lo:[0,1] neg_hi:[0,1]
	v_pk_add_f16 v19, v29, v19
	v_add_f16_sdwa v25, v9, v25 dst_sel:DWORD dst_unused:UNUSED_PAD src0_sel:WORD_1 src1_sel:DWORD
	v_fma_f16 v28, v27, s14, v26
	v_pk_add_f16 v10, v10, v29
	v_add_f16_e32 v25, v28, v25
	v_mul_f16_e32 v28, 0xba95, v20
	v_lshrrev_b32_e32 v29, 16, v19
	v_fma_f16 v30, v29, s8, v28
	v_pk_add_f16 v10, v10, v31
	v_add_f16_e32 v25, v30, v25
	v_mul_f16_e32 v30, 0x33a8, v21
	v_lshrrev_b32_e32 v31, 16, v17
	;; [unrolled: 5-line block ×3, first 2 shown]
	v_fma_f16 v36, v35, s7, v32
	v_add_f16_e32 v25, v36, v25
	v_mul_f16_e32 v36, 0xbb7b, v23
	v_lshrrev_b32_e32 v37, 16, v11
	v_fma_f16 v38, v37, s15, v36
	v_add_f16_e32 v25, v38, v25
	v_mul_f16_sdwa v38, v12, s16 dst_sel:DWORD dst_unused:UNUSED_PAD src0_sel:WORD_1 src1_sel:DWORD
	v_fma_f16 v39, v14, s17, -v38
	v_mul_f16_sdwa v40, v16, s20 dst_sel:DWORD dst_unused:UNUSED_PAD src0_sel:WORD_1 src1_sel:DWORD
	v_add_f16_e32 v39, v9, v39
	v_fma_f16 v41, v18, s14, -v40
	v_add_f16_e32 v39, v41, v39
	v_mul_f16_sdwa v41, v20, s22 dst_sel:DWORD dst_unused:UNUSED_PAD src0_sel:WORD_1 src1_sel:DWORD
	v_fma_f16 v42, v19, s8, -v41
	v_add_f16_e32 v39, v42, v39
	v_mul_f16_sdwa v42, v21, s40 dst_sel:DWORD dst_unused:UNUSED_PAD src0_sel:WORD_1 src1_sel:DWORD
	v_fma_f16 v43, v17, s21, -v42
	v_add_f16_e32 v39, v43, v39
	v_mul_f16_sdwa v43, v22, s26 dst_sel:DWORD dst_unused:UNUSED_PAD src0_sel:WORD_1 src1_sel:DWORD
	v_fma_f16 v44, v13, s7, -v43
	v_add_f16_e32 v39, v44, v39
	v_mul_f16_sdwa v44, v23, s9 dst_sel:DWORD dst_unused:UNUSED_PAD src0_sel:WORD_1 src1_sel:DWORD
	v_fma_f16 v45, v11, s15, -v44
	v_add_f16_e32 v39, v45, v39
	v_mul_f16_e32 v45, 0xbb7b, v12
	v_fma_f16 v46, v24, s15, v45
	v_mul_f16_e32 v47, 0x394e, v16
	v_add_f16_sdwa v46, v9, v46 dst_sel:DWORD dst_unused:UNUSED_PAD src0_sel:WORD_1 src1_sel:DWORD
	v_fma_f16 v48, v27, s17, v47
	v_add_f16_e32 v46, v48, v46
	v_mul_f16_e32 v48, 0x3770, v20
	v_fma_f16 v49, v29, s7, v48
	v_add_f16_e32 v46, v49, v46
	v_mul_f16_e32 v49, 0xbbf1, v21
	v_fma_f16 v50, v31, s14, v49
	v_add_f16_e32 v46, v50, v46
	v_mul_f16_e32 v50, 0x33a8, v22
	v_fma_f16 v51, v35, s21, v50
	v_add_f16_e32 v46, v51, v46
	v_mul_f16_e32 v51, 0x3a95, v23
	v_fma_f16 v52, v37, s8, v51
	v_add_f16_e32 v46, v52, v46
	v_mul_f16_sdwa v52, v12, s9 dst_sel:DWORD dst_unused:UNUSED_PAD src0_sel:WORD_1 src1_sel:DWORD
	v_fma_f16 v53, v14, s15, -v52
	v_mul_f16_sdwa v54, v16, s31 dst_sel:DWORD dst_unused:UNUSED_PAD src0_sel:WORD_1 src1_sel:DWORD
	v_add_f16_e32 v53, v9, v53
	v_fma_f16 v55, v18, s17, -v54
	v_add_f16_e32 v53, v55, v53
	v_mul_f16_sdwa v55, v20, s26 dst_sel:DWORD dst_unused:UNUSED_PAD src0_sel:WORD_1 src1_sel:DWORD
	v_fma_f16 v56, v19, s7, -v55
	v_add_f16_e32 v53, v56, v53
	v_mul_f16_sdwa v56, v21, s23 dst_sel:DWORD dst_unused:UNUSED_PAD src0_sel:WORD_1 src1_sel:DWORD
	v_fma_f16 v57, v17, s14, -v56
	v_add_f16_e32 v53, v57, v53
	v_mul_f16_sdwa v57, v22, s40 dst_sel:DWORD dst_unused:UNUSED_PAD src0_sel:WORD_1 src1_sel:DWORD
	v_fma_f16 v58, v13, s21, -v57
	v_add_f16_e32 v53, v58, v53
	v_mul_f16_sdwa v58, v23, s36 dst_sel:DWORD dst_unused:UNUSED_PAD src0_sel:WORD_1 src1_sel:DWORD
	v_fma_f16 v59, v11, s8, -v58
	v_add_f16_e32 v53, v59, v53
	v_mul_f16_e32 v59, 0xbbf1, v12
	v_fma_f16 v60, v24, s14, v59
	v_mul_f16_e32 v61, 0xb3a8, v16
	v_add_f16_sdwa v60, v9, v60 dst_sel:DWORD dst_unused:UNUSED_PAD src0_sel:WORD_1 src1_sel:DWORD
	v_fma_f16 v62, v27, s21, v61
	v_add_f16_e32 v60, v62, v60
	v_mul_f16_e32 v62, 0x3b7b, v20
	v_fma_f16 v63, v29, s15, v62
	v_add_f16_e32 v60, v63, v60
	v_mul_f16_e32 v63, 0x3770, v21
	v_fma_f16 v64, v31, s7, v63
	v_add_f16_e32 v60, v64, v60
	v_mul_f16_e32 v64, 0xba95, v22
	v_fma_f16 v65, v35, s8, v64
	v_add_f16_e32 v60, v65, v60
	v_mul_f16_e32 v65, 0xb9fd, v37
	;; [unrolled: 36-line block ×3, first 2 shown]
	v_fma_f16 v80, v37, s7, v79
	v_add_f16_e32 v74, v80, v74
	v_pk_mul_f16 v80, v14, s24
	v_pk_fma_f16 v81, v12, s25, v80 op_sel:[0,0,1] op_sel_hi:[1,1,0]
	v_pk_fma_f16 v80, v12, s25, v80 op_sel:[0,0,1] op_sel_hi:[1,1,0] neg_lo:[1,0,0] neg_hi:[1,0,0]
	v_pk_mul_f16 v84, v18, s27
	v_alignbit_b32 v82, v9, v9, 16
	v_bfi_b32 v83, s6, v81, v80
	v_pk_fma_f16 v85, v16, s28, v84 op_sel:[0,0,1] op_sel_hi:[1,1,0]
	v_pk_fma_f16 v84, v16, s28, v84 op_sel:[0,0,1] op_sel_hi:[1,1,0] neg_lo:[1,0,0] neg_hi:[1,0,0]
	v_pk_add_f16 v83, v82, v83
	v_bfi_b32 v86, s6, v85, v84
	v_fma_f16 v15, v24, s17, -v15
	v_pk_add_f16 v83, v86, v83
	v_pk_mul_f16 v86, v19, s29
	v_add_f16_sdwa v15, v9, v15 dst_sel:DWORD dst_unused:UNUSED_PAD src0_sel:WORD_1 src1_sel:DWORD
	v_fma_f16 v26, v27, s14, -v26
	v_pk_fma_f16 v87, v20, s30, v86 op_sel:[0,0,1] op_sel_hi:[1,1,0]
	v_pk_fma_f16 v86, v20, s30, v86 op_sel:[0,0,1] op_sel_hi:[1,1,0] neg_lo:[1,0,0] neg_hi:[1,0,0]
	v_add_f16_e32 v15, v26, v15
	v_fma_f16 v26, v29, s8, -v28
	v_bfi_b32 v88, s6, v87, v86
	v_add_f16_e32 v15, v26, v15
	v_fma_f16 v26, v31, s21, -v30
	v_pk_add_f16 v83, v88, v83
	v_pk_mul_f16 v88, v17, s34
	v_add_f16_e32 v15, v26, v15
	v_fma_f16 v26, v35, s7, -v32
	v_pk_fma_f16 v89, v21, s35, v88 op_sel:[0,0,1] op_sel_hi:[1,1,0]
	v_pk_fma_f16 v88, v21, s35, v88 op_sel:[0,0,1] op_sel_hi:[1,1,0] neg_lo:[1,0,0] neg_hi:[1,0,0]
	v_add_f16_e32 v15, v26, v15
	v_fma_f16 v26, v37, s15, -v36
	v_bfi_b32 v90, s6, v89, v88
	v_add_f16_e32 v15, v26, v15
	v_fma_f16 v26, v14, s17, v38
	v_pk_add_f16 v83, v90, v83
	v_pk_mul_f16 v90, v13, s37
	v_add_f16_e32 v26, v9, v26
	v_fma_f16 v28, v18, s14, v40
	v_pk_fma_f16 v91, v22, s38, v90 op_sel:[0,0,1] op_sel_hi:[1,1,0]
	v_pk_fma_f16 v90, v22, s38, v90 op_sel:[0,0,1] op_sel_hi:[1,1,0] neg_lo:[1,0,0] neg_hi:[1,0,0]
	v_add_f16_e32 v26, v28, v26
	v_fma_f16 v28, v19, s8, v41
	v_bfi_b32 v92, s6, v91, v90
	v_add_f16_e32 v26, v28, v26
	v_fma_f16 v28, v17, s21, v42
	v_pk_add_f16 v83, v92, v83
	v_pk_mul_f16 v92, v11, s41
	v_add_f16_e32 v26, v28, v26
	v_fma_f16 v28, v13, s7, v43
	v_pk_fma_f16 v93, v23, s39, v92 op_sel:[0,0,1] op_sel_hi:[1,1,0]
	v_pk_fma_f16 v94, v23, s39, v92 op_sel:[0,0,1] op_sel_hi:[1,1,0] neg_lo:[1,0,0] neg_hi:[1,0,0]
	v_add_f16_e32 v26, v28, v26
	v_fma_f16 v28, v11, s15, v44
	v_bfi_b32 v93, s6, v93, v94
	v_add_f16_e32 v26, v28, v26
	v_fma_f16 v28, v24, s15, -v45
	v_pk_add_f16 v83, v93, v83
	v_mul_f16_sdwa v93, v12, s18 dst_sel:DWORD dst_unused:UNUSED_PAD src0_sel:WORD_1 src1_sel:DWORD
	v_add_f16_sdwa v28, v9, v28 dst_sel:DWORD dst_unused:UNUSED_PAD src0_sel:WORD_1 src1_sel:DWORD
	v_fma_f16 v30, v27, s17, -v47
	v_fma_f16 v95, v14, s7, -v93
	v_mul_f16_sdwa v96, v16, s22 dst_sel:DWORD dst_unused:UNUSED_PAD src0_sel:WORD_1 src1_sel:DWORD
	v_add_f16_e32 v28, v30, v28
	v_fma_f16 v30, v29, s7, -v48
	v_add_f16_e32 v95, v9, v95
	v_fma_f16 v97, v18, s8, -v96
	;; [unrolled: 2-line block ×3, first 2 shown]
	v_fma_f16 v36, v24, s14, -v59
	v_fma_f16 v24, v24, s8, -v73
	v_add_f16_e32 v95, v97, v95
	v_mul_f16_sdwa v97, v20, s23 dst_sel:DWORD dst_unused:UNUSED_PAD src0_sel:WORD_1 src1_sel:DWORD
	v_add_f16_e32 v28, v30, v28
	v_fma_f16 v30, v35, s21, -v50
	v_add_f16_sdwa v36, v9, v36 dst_sel:DWORD dst_unused:UNUSED_PAD src0_sel:WORD_1 src1_sel:DWORD
	v_fma_f16 v38, v27, s21, -v61
	v_add_f16_sdwa v24, v9, v24 dst_sel:DWORD dst_unused:UNUSED_PAD src0_sel:WORD_1 src1_sel:DWORD
	v_fma_f16 v27, v27, s15, -v75
	v_fma_f16 v98, v19, s14, -v97
	v_add_f16_e32 v28, v30, v28
	v_fma_f16 v30, v37, s8, -v51
	v_add_f16_e32 v36, v38, v36
	;; [unrolled: 2-line block ×3, first 2 shown]
	v_fma_f16 v27, v29, s21, -v76
	v_pack_b32_f16 v25, v39, v25
	v_add_f16_e32 v95, v98, v95
	v_mul_f16_sdwa v98, v21, s9 dst_sel:DWORD dst_unused:UNUSED_PAD src0_sel:WORD_1 src1_sel:DWORD
	v_add_f16_e32 v28, v30, v28
	v_fma_f16 v30, v14, s15, v52
	v_add_f16_e32 v36, v40, v36
	v_fma_f16 v40, v31, s7, -v63
	v_fma_f16 v41, v14, s14, v66
	v_add_f16_e32 v24, v27, v24
	v_fma_f16 v27, v31, s17, -v77
	v_fma_f16 v31, v14, s7, v93
	ds_write2_b32 v0, v10, v25 offset0:169 offset1:174
	v_pk_mul_f16 v10, v14, s21 op_sel_hi:[1,0]
	v_fma_f16 v99, v17, s15, -v98
	v_add_f16_e32 v30, v9, v30
	v_fma_f16 v32, v18, s17, v54
	v_add_f16_e32 v41, v9, v41
	v_fma_f16 v42, v18, s21, v68
	v_add_f16_sdwa v29, v9, v80 dst_sel:DWORD dst_unused:UNUSED_PAD src0_sel:WORD_1 src1_sel:DWORD
	v_add_f16_e32 v9, v9, v31
	v_fma_f16 v31, v18, s8, v96
	v_pk_fma_f16 v14, v12, s19, v10 op_sel:[0,0,1] op_sel_hi:[1,0,0] neg_lo:[1,0,0] neg_hi:[1,0,0]
	v_pk_mul_f16 v18, v18, s7 op_sel_hi:[1,0]
	v_pk_fma_f16 v10, v12, s19, v10 op_sel:[0,0,1] op_sel_hi:[1,0,0]
	v_add_f16_e32 v95, v99, v95
	v_mul_f16_sdwa v99, v22, s16 dst_sel:DWORD dst_unused:UNUSED_PAD src0_sel:WORD_1 src1_sel:DWORD
	v_add_f16_e32 v30, v32, v30
	v_fma_f16 v32, v19, s7, v55
	v_add_f16_e32 v41, v42, v41
	v_fma_f16 v42, v19, s15, v69
	v_add_f16_e32 v9, v31, v9
	v_fma_f16 v31, v19, s14, v97
	v_pk_add_f16 v14, v82, v14
	v_pk_fma_f16 v25, v16, s26, v18 op_sel:[0,0,1] op_sel_hi:[1,0,0] neg_lo:[1,0,0] neg_hi:[1,0,0]
	v_pk_mul_f16 v19, v19, s17 op_sel_hi:[1,0]
	v_pk_add_f16 v10, v82, v10
	v_pk_fma_f16 v12, v16, s26, v18 op_sel:[0,0,1] op_sel_hi:[1,0,0]
	v_fma_f16 v100, v13, s17, -v99
	v_add_f16_e32 v30, v32, v30
	v_fma_f16 v32, v17, s14, v56
	v_add_f16_e32 v41, v42, v41
	v_fma_f16 v42, v17, s7, v70
	;; [unrolled: 2-line block ×3, first 2 shown]
	v_pk_add_f16 v14, v25, v14
	v_pk_fma_f16 v25, v20, s16, v19 op_sel:[0,0,1] op_sel_hi:[1,0,0] neg_lo:[1,0,0] neg_hi:[1,0,0]
	v_pk_mul_f16 v17, v17, s8 op_sel_hi:[1,0]
	v_pk_add_f16 v10, v12, v10
	v_pk_fma_f16 v12, v20, s16, v19 op_sel:[0,0,1] op_sel_hi:[1,0,0]
	v_add_f16_e32 v95, v100, v95
	v_mul_f16_sdwa v100, v23, s19 dst_sel:DWORD dst_unused:UNUSED_PAD src0_sel:WORD_1 src1_sel:DWORD
	v_add_f16_e32 v30, v32, v30
	v_fma_f16 v32, v13, s21, v57
	v_add_f16_e32 v41, v42, v41
	v_fma_f16 v42, v13, s8, v71
	v_add_f16_e32 v24, v27, v24
	v_fma_f16 v27, v35, s14, -v78
	v_add_f16_e32 v9, v31, v9
	v_fma_f16 v31, v13, s17, v99
	v_pk_add_f16 v14, v25, v14
	v_pk_fma_f16 v25, v21, s36, v17 op_sel:[0,0,1] op_sel_hi:[1,0,0] neg_lo:[1,0,0] neg_hi:[1,0,0]
	v_pk_mul_f16 v13, v13, s15 op_sel_hi:[1,0]
	v_pk_add_f16 v10, v12, v10
	v_pk_fma_f16 v12, v21, s36, v17 op_sel:[0,0,1] op_sel_hi:[1,0,0]
	v_fma_f16 v101, v11, s21, -v100
	v_add_f16_e32 v30, v32, v30
	v_fma_f16 v32, v11, s8, v58
	v_add_f16_e32 v41, v42, v41
	v_fma_f16 v42, v11, s17, v72
	v_add_f16_e32 v24, v27, v24
	v_fma_f16 v27, v37, s7, -v79
	v_add_f16_e32 v9, v31, v9
	v_fma_f16 v31, v11, s21, v100
	v_pk_add_f16 v14, v25, v14
	v_pk_fma_f16 v25, v22, s9, v13 op_sel:[0,0,1] op_sel_hi:[1,0,0] neg_lo:[1,0,0] neg_hi:[1,0,0]
	v_pk_mul_f16 v11, v11, s14 op_sel_hi:[1,0]
	v_pk_add_f16 v10, v12, v10
	v_pk_fma_f16 v12, v22, s9, v13 op_sel:[0,0,1] op_sel_hi:[1,0,0]
	v_add_f16_e32 v24, v27, v24
	v_pk_add_f16 v27, v82, v81
	v_pk_add_f16 v14, v25, v14
	v_pk_fma_f16 v25, v23, s20, v11 op_sel:[0,0,1] op_sel_hi:[1,0,0] neg_lo:[1,0,0] neg_hi:[1,0,0]
	v_pk_add_f16 v10, v12, v10
	v_pk_fma_f16 v11, v23, s20, v11 op_sel:[0,0,1] op_sel_hi:[1,0,0]
	v_pk_add_f16 v27, v85, v27
	v_pk_add_f16 v14, v25, v14
	v_pk_add_f16 v10, v11, v10
	v_add_f16_e32 v30, v32, v30
	v_pk_add_f16 v27, v87, v27
	v_alignbit_b32 v11, v14, v10, 16
	v_alignbit_b32 v10, v10, v14, 16
	v_mul_f16_e32 v32, 0xb94e, v23
	v_pk_add_f16 v27, v89, v27
	ds_write2_b32 v0, v10, v11 offset0:175 offset1:176
	v_pack_b32_f16 v10, v30, v28
	v_pack_b32_f16 v11, v26, v15
	v_add_f16_e32 v29, v84, v29
	ds_write2_b32 v0, v11, v10 offset0:177 offset1:178
	v_bfi_b32 v10, s6, v32, v27
	v_pk_mul_f16 v38, v23, s39
	v_add_f16_e32 v36, v40, v36
	v_fma_f16 v40, v35, s8, -v64
	v_add_f16_e32 v29, v86, v29
	v_pk_add_f16 v10, v65, v10 neg_lo:[0,1] neg_hi:[0,1]
	v_pk_add_f16 v11, v91, v27
	v_add_f16_e32 v29, v88, v29
	v_bfi_b32 v10, s6, v10, v11
	v_pack_b32_f16 v11, v40, v92
	v_bfi_b32 v12, s6, v36, v38
	v_add_f16_e32 v95, v101, v95
	v_add_f16_e32 v29, v90, v29
	v_pk_add_f16 v11, v11, v12
	v_add_f16_e32 v41, v42, v41
	v_add_f16_e32 v29, v94, v29
	;; [unrolled: 1-line block ×3, first 2 shown]
	v_alignbit_b32 v31, v74, v83, 16
	v_pack_b32_f16 v35, v95, v83
	v_pk_add_f16 v10, v10, v11
	ds_write2_b32 v0, v35, v31 offset0:170 offset1:171
	v_pack_b32_f16 v31, v53, v46
	v_pack_b32_f16 v35, v67, v60
	v_alignbit_b32 v11, v24, v10, 16
	v_pack_b32_f16 v10, v41, v10
	v_pack_b32_f16 v9, v9, v29
	ds_write2_b32 v0, v35, v31 offset0:172 offset1:173
	ds_write2_b32 v0, v10, v11 offset0:179 offset1:180
	ds_write_b32 v0, v9 offset:724
.LBB0_21:
	s_or_b64 exec, exec, s[2:3]
	v_mov_b32_e32 v9, s13
	v_add_co_u32_e64 v7, s[0:1], s12, v7
	v_addc_co_u32_e64 v8, s[0:1], v9, v8, s[0:1]
	s_movk_i32 s0, 0x4f
	v_add_u16_e32 v12, 52, v5
	v_mul_lo_u16_sdwa v13, v12, s0 dst_sel:DWORD dst_unused:UNUSED_PAD src0_sel:BYTE_0 src1_sel:DWORD
	v_lshrrev_b16_e32 v13, 10, v13
	v_mul_lo_u16_e32 v13, 13, v13
	v_sub_u16_e32 v12, v12, v13
	v_mov_b32_e32 v13, 2
	v_lshlrev_b32_sdwa v19, v13, v12 dst_sel:DWORD dst_unused:UNUSED_PAD src0_sel:DWORD src1_sel:BYTE_0
	v_add_u16_e32 v12, 0x41, v5
	v_mul_lo_u16_sdwa v14, v12, s0 dst_sel:DWORD dst_unused:UNUSED_PAD src0_sel:BYTE_0 src1_sel:DWORD
	v_lshrrev_b16_e32 v14, 10, v14
	v_mul_lo_u16_e32 v14, 13, v14
	v_add_u16_e32 v9, 26, v5
	v_sub_u16_e32 v12, v12, v14
	v_mul_lo_u16_sdwa v10, v9, s0 dst_sel:DWORD dst_unused:UNUSED_PAD src0_sel:BYTE_0 src1_sel:DWORD
	v_lshlrev_b32_sdwa v20, v13, v12 dst_sel:DWORD dst_unused:UNUSED_PAD src0_sel:DWORD src1_sel:BYTE_0
	v_add_u16_e32 v12, 0x4e, v5
	v_lshrrev_b16_e32 v10, 10, v10
	v_mul_lo_u16_sdwa v14, v12, s0 dst_sel:DWORD dst_unused:UNUSED_PAD src0_sel:BYTE_0 src1_sel:DWORD
	v_mul_lo_u16_e32 v10, 13, v10
	v_lshrrev_b16_e32 v14, 10, v14
	v_sub_u16_e32 v9, v9, v10
	v_add_u16_e32 v10, 39, v5
	v_mul_lo_u16_e32 v14, 13, v14
	v_mul_lo_u16_sdwa v11, v10, s0 dst_sel:DWORD dst_unused:UNUSED_PAD src0_sel:BYTE_0 src1_sel:DWORD
	v_sub_u16_e32 v12, v12, v14
	v_lshlrev_b32_sdwa v24, v13, v9 dst_sel:DWORD dst_unused:UNUSED_PAD src0_sel:DWORD src1_sel:BYTE_0
	s_waitcnt lgkmcnt(0)
	; wave barrier
	s_waitcnt lgkmcnt(0)
	v_lshlrev_b32_sdwa v21, v13, v12 dst_sel:DWORD dst_unused:UNUSED_PAD src0_sel:DWORD src1_sel:BYTE_0
	global_load_dword v22, v20, s[12:13]
	global_load_dword v23, v21, s[12:13]
	;; [unrolled: 1-line block ×4, first 2 shown]
	global_load_dword v27, v[7:8], off
	v_lshrrev_b16_e32 v7, 10, v11
	v_mul_lo_u16_e32 v7, 13, v7
	v_sub_u16_e32 v7, v10, v7
	v_lshlrev_b32_sdwa v28, v13, v7 dst_sel:DWORD dst_unused:UNUSED_PAD src0_sel:DWORD src1_sel:BYTE_0
	global_load_dword v29, v28, s[12:13]
	ds_read2_b32 v[7:8], v6 offset0:91 offset1:104
	ds_read2_b32 v[9:10], v6 offset0:13 offset1:26
	;; [unrolled: 1-line block ×5, first 2 shown]
	ds_read_b32 v30, v33
	ds_read_b32 v31, v6 offset:676
	ds_read2_b32 v[17:18], v6 offset0:143 offset1:156
	v_add3_u32 v24, 0, v24, v34
	v_add3_u32 v28, 0, v28, v34
	v_add3_u32 v19, 0, v19, v34
	v_add3_u32 v20, 0, v20, v34
	v_add3_u32 v21, 0, v21, v34
	s_waitcnt lgkmcnt(0)
	; wave barrier
	s_waitcnt lgkmcnt(0)
	s_movk_i32 s0, 0x2b26
	s_movk_i32 s1, 0x3b00
	s_mov_b32 s2, 0xbcab
	s_movk_i32 s3, 0x39e0
	s_movk_i32 s7, 0x3574
	s_mov_b32 s8, 0xb574
	s_movk_i32 s9, 0x370e
	s_waitcnt vmcnt(5)
	v_pk_mul_f16 v36, v18, v22 op_sel:[0,1]
	s_waitcnt vmcnt(4)
	v_pk_mul_f16 v35, v31, v23 op_sel:[0,1]
	s_waitcnt vmcnt(1)
	v_pk_mul_f16 v32, v27, v7 op_sel:[0,1]
	v_pk_mul_f16 v34, v27, v8 op_sel:[0,1]
	v_pk_mul_f16 v37, v17, v26 op_sel:[0,1]
	v_pk_fma_f16 v39, v27, v7, v32 op_sel:[0,0,1] op_sel_hi:[1,1,0] neg_lo:[0,0,1] neg_hi:[0,0,1]
	v_pk_fma_f16 v7, v27, v7, v32 op_sel:[0,0,1] op_sel_hi:[1,0,0]
	s_waitcnt vmcnt(0)
	v_pk_mul_f16 v38, v29, v12 op_sel:[0,1]
	v_pk_fma_f16 v32, v27, v8, v34 op_sel:[0,0,1] op_sel_hi:[1,1,0] neg_lo:[0,0,1] neg_hi:[0,0,1]
	v_pk_fma_f16 v8, v27, v8, v34 op_sel:[0,0,1] op_sel_hi:[1,0,0]
	v_pk_fma_f16 v27, v31, v23, v35 op_sel:[0,0,1] op_sel_hi:[1,1,0] neg_lo:[0,0,1] neg_hi:[0,0,1]
	v_pk_fma_f16 v23, v31, v23, v35 op_sel:[0,0,1] op_sel_hi:[1,0,0]
	;; [unrolled: 2-line block ×5, first 2 shown]
	v_bfi_b32 v12, s6, v26, v12
	v_pk_mul_f16 v26, v25, v11 op_sel:[0,1]
	v_bfi_b32 v7, s6, v39, v7
	v_bfi_b32 v23, s6, v27, v23
	v_pk_fma_f16 v27, v25, v11, v26 op_sel:[0,0,1] op_sel_hi:[1,1,0] neg_lo:[0,0,1] neg_hi:[0,0,1]
	v_pk_fma_f16 v11, v25, v11, v26 op_sel:[0,0,1] op_sel_hi:[1,0,0]
	v_bfi_b32 v8, s6, v32, v8
	v_bfi_b32 v18, s6, v31, v18
	;; [unrolled: 1-line block ×3, first 2 shown]
	v_pk_add_f16 v7, v30, v7 neg_lo:[0,1] neg_hi:[0,1]
	v_bfi_b32 v11, s6, v27, v11
	v_pk_add_f16 v8, v9, v8 neg_lo:[0,1] neg_hi:[0,1]
	v_pk_add_f16 v22, v16, v23 neg_lo:[0,1] neg_hi:[0,1]
	;; [unrolled: 1-line block ×4, first 2 shown]
	v_pk_fma_f16 v23, v30, 2.0, v7 op_sel_hi:[1,0,1] neg_lo:[0,0,1] neg_hi:[0,0,1]
	v_pk_add_f16 v12, v13, v12 neg_lo:[0,1] neg_hi:[0,1]
	v_pk_add_f16 v11, v10, v11 neg_lo:[0,1] neg_hi:[0,1]
	v_pk_fma_f16 v9, v9, 2.0, v8 op_sel_hi:[1,0,1] neg_lo:[0,0,1] neg_hi:[0,0,1]
	v_pk_fma_f16 v16, v16, 2.0, v22 op_sel_hi:[1,0,1] neg_lo:[0,0,1] neg_hi:[0,0,1]
	;; [unrolled: 1-line block ×6, first 2 shown]
	ds_write2_b32 v6, v23, v7 offset1:13
	ds_write2_b32 v6, v9, v8 offset0:26 offset1:39
	ds_write2_b32 v24, v10, v11 offset0:52 offset1:65
	;; [unrolled: 1-line block ×6, first 2 shown]
	v_mul_u32_u24_e32 v7, 6, v5
	v_lshlrev_b32_e32 v19, 2, v7
	s_waitcnt lgkmcnt(0)
	; wave barrier
	s_waitcnt lgkmcnt(0)
	global_load_dwordx4 v[7:10], v19, s[12:13] offset:52
	global_load_dwordx2 v[15:16], v19, s[12:13] offset:68
	global_load_dwordx4 v[11:14], v19, s[12:13] offset:364
	global_load_dwordx2 v[17:18], v19, s[12:13] offset:380
	ds_read2_b32 v[19:20], v6 offset0:13 offset1:26
	ds_read2_b32 v[21:22], v6 offset0:39 offset1:52
	;; [unrolled: 1-line block ×6, first 2 shown]
	ds_read_b32 v31, v33
	ds_read_b32 v32, v6 offset:676
	s_waitcnt lgkmcnt(4)
	v_lshrrev_b32_e32 v33, 16, v26
	v_lshrrev_b32_e32 v38, 16, v25
	s_waitcnt lgkmcnt(2)
	v_lshrrev_b32_e32 v37, 16, v29
	v_lshrrev_b32_e32 v40, 16, v20
	;; [unrolled: 3-line block ×3, first 2 shown]
	v_lshrrev_b32_e32 v44, 16, v30
	v_lshrrev_b32_e32 v34, 16, v21
	v_lshrrev_b32_e32 v42, 16, v24
	v_lshrrev_b32_e32 v43, 16, v28
	v_lshrrev_b32_e32 v35, 16, v23
	v_lshrrev_b32_e32 v36, 16, v27
	s_mov_b32 s6, 0xb9e0
	s_waitcnt lgkmcnt(0)
	; wave barrier
	s_waitcnt vmcnt(3)
	v_mul_f16_sdwa v45, v7, v40 dst_sel:DWORD dst_unused:UNUSED_PAD src0_sel:WORD_1 src1_sel:DWORD
	s_waitcnt vmcnt(2)
	v_mul_f16_sdwa v55, v33, v16 dst_sel:DWORD dst_unused:UNUSED_PAD src0_sel:DWORD src1_sel:WORD_1
	v_mul_f16_sdwa v56, v26, v16 dst_sel:DWORD dst_unused:UNUSED_PAD src0_sel:DWORD src1_sel:WORD_1
	v_fma_f16 v26, v26, v16, -v55
	v_fma_f16 v16, v33, v16, v56
	s_waitcnt vmcnt(1)
	v_mul_f16_sdwa v33, v37, v14 dst_sel:DWORD dst_unused:UNUSED_PAD src0_sel:DWORD src1_sel:WORD_1
	v_fma_f16 v33, v29, v14, -v33
	v_mul_f16_sdwa v29, v29, v14 dst_sel:DWORD dst_unused:UNUSED_PAD src0_sel:DWORD src1_sel:WORD_1
	v_fma_f16 v14, v37, v14, v29
	s_waitcnt vmcnt(0)
	v_mul_f16_sdwa v29, v38, v17 dst_sel:DWORD dst_unused:UNUSED_PAD src0_sel:DWORD src1_sel:WORD_1
	v_fma_f16 v29, v25, v17, -v29
	v_mul_f16_sdwa v25, v25, v17 dst_sel:DWORD dst_unused:UNUSED_PAD src0_sel:DWORD src1_sel:WORD_1
	v_mul_f16_sdwa v46, v7, v20 dst_sel:DWORD dst_unused:UNUSED_PAD src0_sel:WORD_1 src1_sel:DWORD
	v_mul_f16_sdwa v47, v8, v41 dst_sel:DWORD dst_unused:UNUSED_PAD src0_sel:WORD_1 src1_sel:DWORD
	;; [unrolled: 1-line block ×5, first 2 shown]
	v_fma_f16 v17, v38, v17, v25
	v_mul_f16_sdwa v25, v39, v18 dst_sel:DWORD dst_unused:UNUSED_PAD src0_sel:DWORD src1_sel:WORD_1
	v_mul_f16_sdwa v49, v9, v42 dst_sel:DWORD dst_unused:UNUSED_PAD src0_sel:WORD_1 src1_sel:DWORD
	v_mul_f16_sdwa v50, v9, v24 dst_sel:DWORD dst_unused:UNUSED_PAD src0_sel:WORD_1 src1_sel:DWORD
	;; [unrolled: 1-line block ×4, first 2 shown]
	v_mul_f16_sdwa v57, v34, v11 dst_sel:DWORD dst_unused:UNUSED_PAD src0_sel:DWORD src1_sel:WORD_1
	v_mul_f16_sdwa v58, v21, v11 dst_sel:DWORD dst_unused:UNUSED_PAD src0_sel:DWORD src1_sel:WORD_1
	v_fma_f16 v20, v7, v20, -v45
	v_fma_f16 v7, v7, v40, v46
	v_fma_f16 v22, v8, v22, -v47
	v_fma_f16 v8, v8, v41, v48
	;; [unrolled: 2-line block ×3, first 2 shown]
	v_fma_f16 v25, v32, v18, -v25
	v_mul_f16_sdwa v32, v32, v18 dst_sel:DWORD dst_unused:UNUSED_PAD src0_sel:DWORD src1_sel:WORD_1
	v_fma_f16 v24, v9, v24, -v49
	v_fma_f16 v9, v9, v42, v50
	v_fma_f16 v28, v10, v28, -v51
	v_fma_f16 v10, v10, v43, v52
	;; [unrolled: 2-line block ×3, first 2 shown]
	v_fma_f16 v18, v39, v18, v32
	v_add_f16_e32 v32, v20, v26
	v_add_f16_e32 v34, v7, v16
	v_sub_f16_e32 v20, v20, v26
	v_sub_f16_e32 v7, v7, v16
	v_add_f16_e32 v16, v22, v30
	v_add_f16_e32 v26, v8, v15
	v_mul_f16_sdwa v59, v35, v12 dst_sel:DWORD dst_unused:UNUSED_PAD src0_sel:DWORD src1_sel:WORD_1
	v_mul_f16_sdwa v60, v23, v12 dst_sel:DWORD dst_unused:UNUSED_PAD src0_sel:DWORD src1_sel:WORD_1
	v_mul_f16_sdwa v61, v36, v13 dst_sel:DWORD dst_unused:UNUSED_PAD src0_sel:DWORD src1_sel:WORD_1
	v_mul_f16_sdwa v62, v27, v13 dst_sel:DWORD dst_unused:UNUSED_PAD src0_sel:DWORD src1_sel:WORD_1
	v_sub_f16_e32 v22, v22, v30
	v_sub_f16_e32 v8, v8, v15
	v_add_f16_e32 v15, v24, v28
	v_add_f16_e32 v30, v9, v10
	v_sub_f16_e32 v24, v28, v24
	v_sub_f16_e32 v9, v10, v9
	v_add_f16_e32 v10, v16, v32
	v_add_f16_e32 v28, v26, v34
	v_fma_f16 v23, v23, v12, -v59
	v_fma_f16 v12, v35, v12, v60
	v_fma_f16 v27, v27, v13, -v61
	v_fma_f16 v13, v36, v13, v62
	v_sub_f16_e32 v35, v16, v32
	v_sub_f16_e32 v36, v26, v34
	;; [unrolled: 1-line block ×6, first 2 shown]
	v_add_f16_e32 v37, v24, v22
	v_add_f16_e32 v38, v9, v8
	v_sub_f16_e32 v39, v24, v22
	v_sub_f16_e32 v40, v9, v8
	;; [unrolled: 1-line block ×4, first 2 shown]
	v_add_f16_e32 v10, v15, v10
	v_add_f16_e32 v15, v30, v28
	v_sub_f16_e32 v24, v20, v24
	v_sub_f16_e32 v9, v7, v9
	v_add_f16_e32 v20, v37, v20
	v_add_f16_e32 v7, v38, v7
	;; [unrolled: 1-line block ×3, first 2 shown]
	v_add_f16_sdwa v30, v15, v31 dst_sel:DWORD dst_unused:UNUSED_PAD src0_sel:DWORD src1_sel:WORD_1
	v_mul_f16_e32 v31, 0x3a52, v32
	v_mul_f16_e32 v32, 0x3a52, v34
	;; [unrolled: 1-line block ×8, first 2 shown]
	v_fma_f16 v10, v10, s2, v28
	v_fma_f16 v15, v15, s2, v30
	;; [unrolled: 1-line block ×4, first 2 shown]
	v_fma_f16 v34, v35, s3, -v34
	v_fma_f16 v37, v36, s3, -v37
	;; [unrolled: 1-line block ×4, first 2 shown]
	v_fma_f16 v35, v24, s7, v38
	v_fma_f16 v36, v9, s7, v39
	v_fma_f16 v22, v22, s1, -v38
	v_fma_f16 v8, v8, s1, -v39
	;; [unrolled: 1-line block ×4, first 2 shown]
	v_add_f16_e32 v16, v16, v10
	v_add_f16_e32 v26, v26, v15
	;; [unrolled: 1-line block ×6, first 2 shown]
	v_fma_f16 v31, v20, s9, v35
	v_fma_f16 v32, v7, s9, v36
	;; [unrolled: 1-line block ×6, first 2 shown]
	v_add_f16_e32 v9, v32, v16
	v_sub_f16_e32 v24, v26, v31
	v_add_f16_e32 v35, v7, v10
	v_sub_f16_e32 v36, v15, v20
	v_sub_f16_e32 v7, v10, v7
	v_add_f16_e32 v10, v20, v15
	v_sub_f16_e32 v15, v16, v32
	v_add_f16_e32 v16, v31, v26
	v_add_f16_e32 v20, v21, v25
	;; [unrolled: 1-line block ×3, first 2 shown]
	v_sub_f16_e32 v21, v21, v25
	v_sub_f16_e32 v11, v11, v18
	v_add_f16_e32 v18, v23, v29
	v_add_f16_e32 v25, v12, v17
	v_sub_f16_e32 v23, v23, v29
	v_sub_f16_e32 v12, v12, v17
	v_add_f16_e32 v17, v27, v33
	v_add_f16_e32 v29, v13, v14
	;; [unrolled: 4-line block ×3, first 2 shown]
	v_sub_f16_e32 v38, v34, v8
	v_add_f16_e32 v39, v22, v37
	v_add_f16_e32 v8, v8, v34
	v_sub_f16_e32 v22, v37, v22
	v_sub_f16_e32 v32, v18, v20
	;; [unrolled: 1-line block ×7, first 2 shown]
	v_add_f16_e32 v34, v27, v23
	v_add_f16_e32 v37, v13, v12
	v_sub_f16_e32 v40, v27, v23
	v_sub_f16_e32 v41, v13, v12
	v_add_f16_e32 v14, v17, v14
	v_add_f16_e32 v17, v29, v31
	v_sub_f16_e32 v27, v21, v27
	v_sub_f16_e32 v13, v11, v13
	;; [unrolled: 1-line block ×4, first 2 shown]
	v_add_f16_e32 v21, v34, v21
	v_add_f16_e32 v11, v37, v11
	;; [unrolled: 1-line block ×3, first 2 shown]
	v_add_f16_sdwa v19, v17, v19 dst_sel:DWORD dst_unused:UNUSED_PAD src0_sel:DWORD src1_sel:WORD_1
	v_mul_f16_e32 v20, 0x3a52, v20
	v_mul_f16_e32 v26, 0x3a52, v26
	;; [unrolled: 1-line block ×8, first 2 shown]
	v_fma_f16 v14, v14, s2, v29
	v_fma_f16 v17, v17, s2, v19
	;; [unrolled: 1-line block ×4, first 2 shown]
	v_fma_f16 v31, v32, s3, -v31
	v_fma_f16 v34, v33, s3, -v34
	;; [unrolled: 1-line block ×4, first 2 shown]
	v_fma_f16 v32, v27, s7, v37
	v_fma_f16 v33, v13, s7, v40
	v_fma_f16 v23, v23, s1, -v37
	v_fma_f16 v12, v12, s1, -v40
	;; [unrolled: 1-line block ×4, first 2 shown]
	v_add_f16_e32 v18, v18, v14
	v_add_f16_e32 v25, v25, v17
	;; [unrolled: 1-line block ×6, first 2 shown]
	v_fma_f16 v20, v21, s9, v32
	v_fma_f16 v26, v11, s9, v33
	;; [unrolled: 1-line block ×6, first 2 shown]
	v_add_f16_e32 v13, v26, v18
	v_sub_f16_e32 v27, v25, v20
	v_add_f16_e32 v32, v11, v14
	v_sub_f16_e32 v33, v17, v21
	v_pack_b32_f16 v9, v9, v24
	v_pack_b32_f16 v13, v13, v27
	v_sub_f16_e32 v37, v31, v12
	v_add_f16_e32 v40, v23, v34
	v_sub_f16_e32 v11, v14, v11
	v_add_f16_e32 v14, v21, v17
	v_pack_b32_f16 v21, v35, v36
	ds_write2_b32 v6, v9, v13 offset0:26 offset1:39
	v_pack_b32_f16 v9, v32, v33
	v_add_f16_e32 v12, v12, v31
	v_sub_f16_e32 v23, v34, v23
	v_pack_b32_f16 v24, v38, v39
	ds_write2_b32 v6, v21, v9 offset0:52 offset1:65
	v_pack_b32_f16 v9, v37, v40
	v_pack_b32_f16 v8, v8, v22
	ds_write2_b32 v6, v24, v9 offset0:78 offset1:91
	v_pack_b32_f16 v9, v12, v23
	v_sub_f16_e32 v17, v18, v26
	v_add_f16_e32 v18, v20, v25
	v_pack_b32_f16 v7, v7, v10
	ds_write2_b32 v6, v8, v9 offset0:104 offset1:117
	v_pack_b32_f16 v8, v11, v14
	v_pack_b32_f16 v20, v28, v30
	;; [unrolled: 1-line block ×4, first 2 shown]
	ds_write2_b32 v6, v7, v8 offset0:130 offset1:143
	v_pack_b32_f16 v7, v17, v18
	ds_write2_b32 v6, v20, v15 offset1:13
	ds_write2_b32 v6, v10, v7 offset0:156 offset1:169
	s_waitcnt lgkmcnt(0)
	; wave barrier
	s_waitcnt lgkmcnt(0)
	s_and_saveexec_b64 s[0:1], vcc
	s_cbranch_execz .LBB0_23
; %bb.22:
	v_mul_lo_u32 v6, s5, v3
	v_mul_lo_u32 v7, s4, v4
	v_mad_u64_u32 v[3:4], s[0:1], s4, v3, 0
	v_lshl_add_u32 v9, v5, 2, v0
	v_mov_b32_e32 v0, s11
	v_add3_u32 v4, v4, v7, v6
	v_lshlrev_b64 v[3:4], 2, v[3:4]
	v_mov_b32_e32 v6, 0
	v_add_co_u32_e32 v3, vcc, s10, v3
	v_addc_co_u32_e32 v4, vcc, v0, v4, vcc
	v_lshlrev_b64 v[0:1], 2, v[1:2]
	ds_read2_b32 v[7:8], v9 offset0:130 offset1:143
	v_add_co_u32_e32 v10, vcc, v3, v0
	ds_read2_b32 v[2:3], v9 offset1:13
	v_addc_co_u32_e32 v4, vcc, v4, v1, vcc
	v_lshlrev_b64 v[0:1], 2, v[5:6]
	v_add_co_u32_e32 v0, vcc, v10, v0
	v_addc_co_u32_e32 v1, vcc, v4, v1, vcc
	s_waitcnt lgkmcnt(0)
	global_store_dword v[0:1], v2, off
	v_add_u32_e32 v0, 13, v5
	v_mov_b32_e32 v1, v6
	v_lshlrev_b64 v[0:1], 2, v[0:1]
	v_add_co_u32_e32 v0, vcc, v10, v0
	v_addc_co_u32_e32 v1, vcc, v4, v1, vcc
	global_store_dword v[0:1], v3, off
	v_add_u32_e32 v0, 26, v5
	v_mov_b32_e32 v1, v6
	ds_read2_b32 v[2:3], v9 offset0:26 offset1:39
	v_lshlrev_b64 v[0:1], 2, v[0:1]
	v_add_co_u32_e32 v0, vcc, v10, v0
	v_addc_co_u32_e32 v1, vcc, v4, v1, vcc
	s_waitcnt lgkmcnt(0)
	global_store_dword v[0:1], v2, off
	v_add_u32_e32 v0, 39, v5
	v_mov_b32_e32 v1, v6
	v_lshlrev_b64 v[0:1], 2, v[0:1]
	v_add_co_u32_e32 v0, vcc, v10, v0
	v_addc_co_u32_e32 v1, vcc, v4, v1, vcc
	global_store_dword v[0:1], v3, off
	v_add_u32_e32 v0, 52, v5
	v_mov_b32_e32 v1, v6
	ds_read2_b32 v[2:3], v9 offset0:52 offset1:65
	;; [unrolled: 14-line block ×4, first 2 shown]
	v_lshlrev_b64 v[0:1], 2, v[0:1]
	v_add_co_u32_e32 v0, vcc, v10, v0
	v_addc_co_u32_e32 v1, vcc, v4, v1, vcc
	s_waitcnt lgkmcnt(0)
	global_store_dword v[0:1], v2, off
	v_add_u32_e32 v0, 0x75, v5
	v_mov_b32_e32 v1, v6
	v_lshlrev_b64 v[0:1], 2, v[0:1]
	v_add_co_u32_e32 v0, vcc, v10, v0
	v_addc_co_u32_e32 v1, vcc, v4, v1, vcc
	global_store_dword v[0:1], v3, off
	v_add_u32_e32 v0, 0x82, v5
	v_mov_b32_e32 v1, v6
	v_lshlrev_b64 v[0:1], 2, v[0:1]
	ds_read2_b32 v[2:3], v9 offset0:156 offset1:169
	v_add_co_u32_e32 v0, vcc, v10, v0
	v_addc_co_u32_e32 v1, vcc, v4, v1, vcc
	global_store_dword v[0:1], v7, off
	v_add_u32_e32 v0, 0x8f, v5
	v_mov_b32_e32 v1, v6
	v_lshlrev_b64 v[0:1], 2, v[0:1]
	v_add_co_u32_e32 v0, vcc, v10, v0
	v_addc_co_u32_e32 v1, vcc, v4, v1, vcc
	global_store_dword v[0:1], v8, off
	v_add_u32_e32 v0, 0x9c, v5
	v_mov_b32_e32 v1, v6
	v_lshlrev_b64 v[0:1], 2, v[0:1]
	v_add_u32_e32 v5, 0xa9, v5
	v_add_co_u32_e32 v0, vcc, v10, v0
	v_addc_co_u32_e32 v1, vcc, v4, v1, vcc
	s_waitcnt lgkmcnt(0)
	global_store_dword v[0:1], v2, off
	v_lshlrev_b64 v[0:1], 2, v[5:6]
	v_add_co_u32_e32 v0, vcc, v10, v0
	v_addc_co_u32_e32 v1, vcc, v4, v1, vcc
	global_store_dword v[0:1], v3, off
.LBB0_23:
	s_endpgm
	.section	.rodata,"a",@progbits
	.p2align	6, 0x0
	.amdhsa_kernel fft_rtc_fwd_len182_factors_13_2_7_wgs_52_tpt_13_half_op_CI_CI_unitstride_sbrr_C2R_dirReg
		.amdhsa_group_segment_fixed_size 0
		.amdhsa_private_segment_fixed_size 0
		.amdhsa_kernarg_size 104
		.amdhsa_user_sgpr_count 6
		.amdhsa_user_sgpr_private_segment_buffer 1
		.amdhsa_user_sgpr_dispatch_ptr 0
		.amdhsa_user_sgpr_queue_ptr 0
		.amdhsa_user_sgpr_kernarg_segment_ptr 1
		.amdhsa_user_sgpr_dispatch_id 0
		.amdhsa_user_sgpr_flat_scratch_init 0
		.amdhsa_user_sgpr_private_segment_size 0
		.amdhsa_uses_dynamic_stack 0
		.amdhsa_system_sgpr_private_segment_wavefront_offset 0
		.amdhsa_system_sgpr_workgroup_id_x 1
		.amdhsa_system_sgpr_workgroup_id_y 0
		.amdhsa_system_sgpr_workgroup_id_z 0
		.amdhsa_system_sgpr_workgroup_info 0
		.amdhsa_system_vgpr_workitem_id 0
		.amdhsa_next_free_vgpr 102
		.amdhsa_next_free_sgpr 42
		.amdhsa_reserve_vcc 1
		.amdhsa_reserve_flat_scratch 0
		.amdhsa_float_round_mode_32 0
		.amdhsa_float_round_mode_16_64 0
		.amdhsa_float_denorm_mode_32 3
		.amdhsa_float_denorm_mode_16_64 3
		.amdhsa_dx10_clamp 1
		.amdhsa_ieee_mode 1
		.amdhsa_fp16_overflow 0
		.amdhsa_exception_fp_ieee_invalid_op 0
		.amdhsa_exception_fp_denorm_src 0
		.amdhsa_exception_fp_ieee_div_zero 0
		.amdhsa_exception_fp_ieee_overflow 0
		.amdhsa_exception_fp_ieee_underflow 0
		.amdhsa_exception_fp_ieee_inexact 0
		.amdhsa_exception_int_div_zero 0
	.end_amdhsa_kernel
	.text
.Lfunc_end0:
	.size	fft_rtc_fwd_len182_factors_13_2_7_wgs_52_tpt_13_half_op_CI_CI_unitstride_sbrr_C2R_dirReg, .Lfunc_end0-fft_rtc_fwd_len182_factors_13_2_7_wgs_52_tpt_13_half_op_CI_CI_unitstride_sbrr_C2R_dirReg
                                        ; -- End function
	.section	.AMDGPU.csdata,"",@progbits
; Kernel info:
; codeLenInByte = 11476
; NumSgprs: 46
; NumVgprs: 102
; ScratchSize: 0
; MemoryBound: 0
; FloatMode: 240
; IeeeMode: 1
; LDSByteSize: 0 bytes/workgroup (compile time only)
; SGPRBlocks: 5
; VGPRBlocks: 25
; NumSGPRsForWavesPerEU: 46
; NumVGPRsForWavesPerEU: 102
; Occupancy: 2
; WaveLimiterHint : 1
; COMPUTE_PGM_RSRC2:SCRATCH_EN: 0
; COMPUTE_PGM_RSRC2:USER_SGPR: 6
; COMPUTE_PGM_RSRC2:TRAP_HANDLER: 0
; COMPUTE_PGM_RSRC2:TGID_X_EN: 1
; COMPUTE_PGM_RSRC2:TGID_Y_EN: 0
; COMPUTE_PGM_RSRC2:TGID_Z_EN: 0
; COMPUTE_PGM_RSRC2:TIDIG_COMP_CNT: 0
	.type	__hip_cuid_6ed0315cc21a3893,@object ; @__hip_cuid_6ed0315cc21a3893
	.section	.bss,"aw",@nobits
	.globl	__hip_cuid_6ed0315cc21a3893
__hip_cuid_6ed0315cc21a3893:
	.byte	0                               ; 0x0
	.size	__hip_cuid_6ed0315cc21a3893, 1

	.ident	"AMD clang version 19.0.0git (https://github.com/RadeonOpenCompute/llvm-project roc-6.4.0 25133 c7fe45cf4b819c5991fe208aaa96edf142730f1d)"
	.section	".note.GNU-stack","",@progbits
	.addrsig
	.addrsig_sym __hip_cuid_6ed0315cc21a3893
	.amdgpu_metadata
---
amdhsa.kernels:
  - .args:
      - .actual_access:  read_only
        .address_space:  global
        .offset:         0
        .size:           8
        .value_kind:     global_buffer
      - .offset:         8
        .size:           8
        .value_kind:     by_value
      - .actual_access:  read_only
        .address_space:  global
        .offset:         16
        .size:           8
        .value_kind:     global_buffer
      - .actual_access:  read_only
        .address_space:  global
        .offset:         24
        .size:           8
        .value_kind:     global_buffer
      - .actual_access:  read_only
        .address_space:  global
        .offset:         32
        .size:           8
        .value_kind:     global_buffer
      - .offset:         40
        .size:           8
        .value_kind:     by_value
      - .actual_access:  read_only
        .address_space:  global
        .offset:         48
        .size:           8
        .value_kind:     global_buffer
      - .actual_access:  read_only
        .address_space:  global
        .offset:         56
        .size:           8
        .value_kind:     global_buffer
      - .offset:         64
        .size:           4
        .value_kind:     by_value
      - .actual_access:  read_only
        .address_space:  global
        .offset:         72
        .size:           8
        .value_kind:     global_buffer
      - .actual_access:  read_only
        .address_space:  global
        .offset:         80
        .size:           8
        .value_kind:     global_buffer
      - .actual_access:  read_only
        .address_space:  global
        .offset:         88
        .size:           8
        .value_kind:     global_buffer
      - .actual_access:  write_only
        .address_space:  global
        .offset:         96
        .size:           8
        .value_kind:     global_buffer
    .group_segment_fixed_size: 0
    .kernarg_segment_align: 8
    .kernarg_segment_size: 104
    .language:       OpenCL C
    .language_version:
      - 2
      - 0
    .max_flat_workgroup_size: 52
    .name:           fft_rtc_fwd_len182_factors_13_2_7_wgs_52_tpt_13_half_op_CI_CI_unitstride_sbrr_C2R_dirReg
    .private_segment_fixed_size: 0
    .sgpr_count:     46
    .sgpr_spill_count: 0
    .symbol:         fft_rtc_fwd_len182_factors_13_2_7_wgs_52_tpt_13_half_op_CI_CI_unitstride_sbrr_C2R_dirReg.kd
    .uniform_work_group_size: 1
    .uses_dynamic_stack: false
    .vgpr_count:     102
    .vgpr_spill_count: 0
    .wavefront_size: 64
amdhsa.target:   amdgcn-amd-amdhsa--gfx906
amdhsa.version:
  - 1
  - 2
...

	.end_amdgpu_metadata
